;; amdgpu-corpus repo=ROCm/rocFFT kind=compiled arch=gfx1201 opt=O3
	.text
	.amdgcn_target "amdgcn-amd-amdhsa--gfx1201"
	.amdhsa_code_object_version 6
	.protected	bluestein_single_fwd_len255_dim1_sp_op_CI_CI ; -- Begin function bluestein_single_fwd_len255_dim1_sp_op_CI_CI
	.globl	bluestein_single_fwd_len255_dim1_sp_op_CI_CI
	.p2align	8
	.type	bluestein_single_fwd_len255_dim1_sp_op_CI_CI,@function
bluestein_single_fwd_len255_dim1_sp_op_CI_CI: ; @bluestein_single_fwd_len255_dim1_sp_op_CI_CI
; %bb.0:
	s_load_b128 s[4:7], s[0:1], 0x28
	v_mul_u32_u24_e32 v1, 0xf10, v0
	s_mov_b32 s2, exec_lo
	s_delay_alu instid0(VALU_DEP_1) | instskip(NEXT) | instid1(VALU_DEP_1)
	v_lshrrev_b32_e32 v1, 16, v1
	v_mad_co_u64_u32 v[68:69], null, ttmp9, 3, v[1:2]
	v_mov_b32_e32 v69, 0
	s_wait_kmcnt 0x0
	s_delay_alu instid0(VALU_DEP_1)
	v_cmpx_gt_u64_e64 s[4:5], v[68:69]
	s_cbranch_execz .LBB0_15
; %bb.1:
	v_mul_hi_u32 v2, 0xaaaaaaab, v68
	v_mul_lo_u16 v1, v1, 17
	s_clause 0x1
	s_load_b64 s[12:13], s[0:1], 0x0
	s_load_b64 s[14:15], s[0:1], 0x38
	s_delay_alu instid0(VALU_DEP_1) | instskip(NEXT) | instid1(VALU_DEP_3)
	v_sub_nc_u16 v0, v0, v1
	v_lshrrev_b32_e32 v2, 1, v2
	s_delay_alu instid0(VALU_DEP_2) | instskip(SKIP_1) | instid1(VALU_DEP_3)
	v_and_b32_e32 v86, 0xffff, v0
	v_cmp_gt_u16_e32 vcc_lo, 15, v0
	v_lshl_add_u32 v2, v2, 1, v2
	s_delay_alu instid0(VALU_DEP_3) | instskip(SKIP_1) | instid1(VALU_DEP_3)
	v_lshlrev_b32_e32 v84, 3, v86
	v_or_b32_e32 v83, 0xf0, v86
	v_sub_nc_u32_e32 v1, v68, v2
	s_delay_alu instid0(VALU_DEP_1) | instskip(NEXT) | instid1(VALU_DEP_1)
	v_mul_u32_u24_e32 v85, 0xff, v1
	v_lshlrev_b32_e32 v87, 3, v85
	s_and_saveexec_b32 s3, vcc_lo
	s_cbranch_execz .LBB0_3
; %bb.2:
	s_load_b64 s[4:5], s[0:1], 0x18
	s_delay_alu instid0(VALU_DEP_1)
	v_lshl_add_u32 v71, v86, 3, v87
	v_add_nc_u32_e32 v72, v87, v84
	s_wait_kmcnt 0x0
	s_load_b128 s[8:11], s[4:5], 0x0
	s_clause 0x7
	global_load_b64 v[4:5], v84, s[12:13]
	global_load_b64 v[6:7], v84, s[12:13] offset:120
	global_load_b64 v[8:9], v84, s[12:13] offset:240
	;; [unrolled: 1-line block ×7, first 2 shown]
	s_wait_kmcnt 0x0
	v_mad_co_u64_u32 v[0:1], null, s10, v68, 0
	v_mad_co_u64_u32 v[2:3], null, s8, v86, 0
	s_mul_u64 s[4:5], s[8:9], 0x78
	s_delay_alu instid0(VALU_DEP_1) | instskip(SKIP_1) | instid1(VALU_DEP_1)
	v_mad_co_u64_u32 v[20:21], null, s11, v68, v[1:2]
	v_mad_co_u64_u32 v[21:22], null, s8, v83, 0
	v_dual_mov_b32 v1, v20 :: v_dual_mov_b32 v20, v22
	s_delay_alu instid0(VALU_DEP_1)
	v_lshlrev_b64_e32 v[0:1], 3, v[0:1]
	s_wait_loadcnt 0x7
	v_mad_co_u64_u32 v[23:24], null, s9, v86, v[3:4]
	s_clause 0x6
	global_load_b64 v[24:25], v84, s[12:13] offset:960
	global_load_b64 v[26:27], v84, s[12:13] offset:1080
	;; [unrolled: 1-line block ×7, first 2 shown]
	v_mov_b32_e32 v3, v23
	v_mad_co_u64_u32 v[22:23], null, s9, v83, v[20:21]
	v_add_co_u32 v23, s2, s6, v0
	s_delay_alu instid0(VALU_DEP_3) | instskip(SKIP_1) | instid1(VALU_DEP_2)
	v_lshlrev_b64_e32 v[2:3], 3, v[2:3]
	v_add_co_ci_u32_e64 v38, s2, s7, v1, s2
	v_add_co_u32 v0, s2, v23, v2
	s_wait_alu 0xf1ff
	s_delay_alu instid0(VALU_DEP_2)
	v_add_co_ci_u32_e64 v1, s2, v38, v3, s2
	v_lshlrev_b64_e32 v[2:3], 3, v[21:22]
	s_wait_alu 0xfffe
	v_add_co_u32 v20, s2, v0, s4
	s_wait_alu 0xf1ff
	v_add_co_ci_u32_e64 v21, s2, s5, v1, s2
	global_load_b64 v[0:1], v[0:1], off
	v_add_co_u32 v2, s2, v23, v2
	s_wait_alu 0xf1ff
	v_add_co_ci_u32_e64 v3, s2, v38, v3, s2
	v_add_co_u32 v22, s2, v20, s4
	s_wait_alu 0xf1ff
	v_add_co_ci_u32_e64 v23, s2, s5, v21, s2
	global_load_b64 v[2:3], v[2:3], off
	v_add_co_u32 v38, s2, v22, s4
	s_wait_alu 0xf1ff
	v_add_co_ci_u32_e64 v39, s2, s5, v23, s2
	s_delay_alu instid0(VALU_DEP_2) | instskip(SKIP_1) | instid1(VALU_DEP_2)
	v_add_co_u32 v40, s2, v38, s4
	s_wait_alu 0xf1ff
	v_add_co_ci_u32_e64 v41, s2, s5, v39, s2
	s_clause 0x2
	global_load_b64 v[20:21], v[20:21], off
	global_load_b64 v[22:23], v[22:23], off
	;; [unrolled: 1-line block ×3, first 2 shown]
	v_add_co_u32 v42, s2, v40, s4
	s_wait_alu 0xf1ff
	v_add_co_ci_u32_e64 v43, s2, s5, v41, s2
	global_load_b64 v[40:41], v[40:41], off
	v_add_co_u32 v44, s2, v42, s4
	s_wait_alu 0xf1ff
	v_add_co_ci_u32_e64 v45, s2, s5, v43, s2
	global_load_b64 v[42:43], v[42:43], off
	;; [unrolled: 4-line block ×11, first 2 shown]
	s_clause 0x1
	global_load_b64 v[64:65], v84, s[12:13] offset:1680
	global_load_b64 v[66:67], v84, s[12:13] offset:1800
	global_load_b64 v[62:63], v[62:63], off
	s_wait_loadcnt 0x12
	v_mul_f32_e32 v69, v1, v5
	v_mul_f32_e32 v70, v0, v5
	s_delay_alu instid0(VALU_DEP_2) | instskip(NEXT) | instid1(VALU_DEP_2)
	v_fmac_f32_e32 v69, v0, v4
	v_fma_f32 v70, v1, v4, -v70
	s_wait_loadcnt 0x10
	v_dual_mul_f32 v5, v3, v37 :: v_dual_mul_f32 v0, v21, v7
	v_mul_f32_e32 v1, v20, v7
	s_wait_loadcnt 0xf
	v_mul_f32_e32 v7, v23, v9
	v_mul_f32_e32 v4, v22, v9
	v_dual_mul_f32 v37, v2, v37 :: v_dual_fmac_f32 v0, v20, v6
	v_fmac_f32_e32 v5, v2, v36
	v_fma_f32 v1, v21, v6, -v1
	s_wait_loadcnt 0xe
	v_mul_f32_e32 v6, v39, v11
	v_mul_f32_e32 v2, v38, v11
	v_fmac_f32_e32 v7, v22, v8
	v_fma_f32 v8, v23, v8, -v4
	ds_store_b64 v71, v[69:70]
	s_wait_loadcnt 0xd
	v_dual_mul_f32 v9, v41, v13 :: v_dual_fmac_f32 v6, v38, v10
	ds_store_2addr_b64 v72, v[0:1], v[7:8] offset0:15 offset1:30
	v_fma_f32 v7, v39, v10, -v2
	s_wait_loadcnt 0xc
	v_mul_f32_e32 v2, v42, v15
	v_dual_mul_f32 v0, v43, v15 :: v_dual_mul_f32 v1, v40, v13
	s_wait_loadcnt 0xb
	v_mul_f32_e32 v11, v45, v17
	v_mul_f32_e32 v4, v44, v17
	s_wait_loadcnt 0xa
	v_dual_fmac_f32 v9, v40, v12 :: v_dual_mul_f32 v8, v47, v19
	v_fmac_f32_e32 v0, v42, v14
	v_fma_f32 v10, v41, v12, -v1
	v_fma_f32 v1, v43, v14, -v2
	;; [unrolled: 1-line block ×3, first 2 shown]
	v_dual_mul_f32 v2, v46, v19 :: v_dual_fmac_f32 v11, v44, v16
	ds_store_2addr_b64 v72, v[6:7], v[9:10] offset0:45 offset1:60
	s_wait_loadcnt 0x9
	v_mul_f32_e32 v10, v49, v25
	v_fmac_f32_e32 v8, v46, v18
	v_fma_f32 v9, v47, v18, -v2
	ds_store_2addr_b64 v72, v[0:1], v[11:12] offset0:75 offset1:90
	s_wait_loadcnt 0x8
	v_dual_mul_f32 v1, v48, v25 :: v_dual_mul_f32 v2, v50, v27
	s_wait_loadcnt 0x7
	v_mul_f32_e32 v4, v52, v29
	v_mul_f32_e32 v0, v51, v27
	;; [unrolled: 1-line block ×3, first 2 shown]
	v_fma_f32 v11, v49, v24, -v1
	v_fma_f32 v1, v51, v26, -v2
	;; [unrolled: 1-line block ×3, first 2 shown]
	s_wait_loadcnt 0x6
	v_mul_f32_e32 v2, v54, v31
	v_mul_f32_e32 v14, v55, v31
	v_fmac_f32_e32 v10, v48, v24
	s_wait_loadcnt 0x5
	v_mul_f32_e32 v4, v56, v33
	v_mul_f32_e32 v16, v57, v33
	v_fma_f32 v15, v55, v30, -v2
	v_fmac_f32_e32 v0, v50, v26
	v_fmac_f32_e32 v12, v52, v28
	s_wait_loadcnt 0x4
	v_mul_f32_e32 v18, v59, v35
	v_fma_f32 v17, v57, v32, -v4
	v_mul_f32_e32 v2, v58, v35
	s_wait_loadcnt 0x2
	v_mul_f32_e32 v20, v61, v65
	v_mul_f32_e32 v4, v60, v65
	s_wait_loadcnt 0x0
	v_mul_f32_e32 v22, v63, v67
	v_mul_f32_e32 v6, v62, v67
	v_fmac_f32_e32 v14, v54, v30
	v_fmac_f32_e32 v16, v56, v32
	;; [unrolled: 1-line block ×3, first 2 shown]
	v_fma_f32 v19, v59, v34, -v2
	v_fmac_f32_e32 v20, v60, v64
	v_fma_f32 v21, v61, v64, -v4
	v_fmac_f32_e32 v22, v62, v66
	v_fma_f32 v23, v63, v66, -v6
	v_fma_f32 v6, v3, v36, -v37
	ds_store_2addr_b64 v72, v[8:9], v[10:11] offset0:105 offset1:120
	ds_store_2addr_b64 v72, v[0:1], v[12:13] offset0:135 offset1:150
	;; [unrolled: 1-line block ×5, first 2 shown]
.LBB0_3:
	s_or_b32 exec_lo, exec_lo, s3
	s_clause 0x1
	s_load_b64 s[4:5], s[0:1], 0x20
	s_load_b64 s[2:3], s[0:1], 0x8
	v_mov_b32_e32 v0, 0
	v_mov_b32_e32 v1, 0
	global_wb scope:SCOPE_SE
	s_wait_dscnt 0x0
	s_wait_kmcnt 0x0
	s_barrier_signal -1
	s_barrier_wait -1
	global_inv scope:SCOPE_SE
                                        ; implicit-def: $vgpr18
                                        ; implicit-def: $vgpr12
                                        ; implicit-def: $vgpr4
                                        ; implicit-def: $vgpr8
                                        ; implicit-def: $vgpr32
                                        ; implicit-def: $vgpr22
                                        ; implicit-def: $vgpr26
                                        ; implicit-def: $vgpr30
	s_and_saveexec_b32 s0, vcc_lo
	s_cbranch_execz .LBB0_5
; %bb.4:
	v_lshl_add_u32 v32, v85, 3, v84
	ds_load_2addr_b64 v[0:3], v32 offset1:15
	ds_load_2addr_b64 v[28:31], v32 offset0:30 offset1:45
	ds_load_2addr_b64 v[24:27], v32 offset0:60 offset1:75
	;; [unrolled: 1-line block ×7, first 2 shown]
	ds_load_b64 v[32:33], v32 offset:1920
.LBB0_5:
	s_wait_alu 0xfffe
	s_or_b32 exec_lo, exec_lo, s0
	s_wait_dscnt 0x0
	v_dual_sub_f32 v77, v3, v33 :: v_dual_add_f32 v34, v32, v2
	v_dual_sub_f32 v93, v2, v32 :: v_dual_add_f32 v36, v33, v3
	s_delay_alu instid0(VALU_DEP_2) | instskip(NEXT) | instid1(VALU_DEP_2)
	v_dual_sub_f32 v81, v29, v11 :: v_dual_mul_f32 v50, 0xbeb8f4ab, v77
	v_dual_add_f32 v35, v10, v28 :: v_dual_mul_f32 v52, 0xbeb8f4ab, v93
	v_dual_sub_f32 v89, v28, v10 :: v_dual_mul_f32 v64, 0xbf2c7751, v93
	s_delay_alu instid0(VALU_DEP_3) | instskip(NEXT) | instid1(VALU_DEP_3)
	v_dual_fmamk_f32 v37, v34, 0x3f6eb680, v50 :: v_dual_sub_f32 v96, v31, v9
	v_fma_f32 v38, 0x3f6eb680, v36, -v52
	v_mul_f32_e32 v51, 0xbf2c7751, v81
	s_delay_alu instid0(VALU_DEP_4) | instskip(NEXT) | instid1(VALU_DEP_3)
	v_dual_mul_f32 v54, 0xbf2c7751, v89 :: v_dual_sub_f32 v101, v30, v8
	v_dual_add_f32 v39, v37, v0 :: v_dual_add_f32 v40, v38, v1
	s_delay_alu instid0(VALU_DEP_3) | instskip(SKIP_3) | instid1(VALU_DEP_4)
	v_fmamk_f32 v42, v35, 0x3f3d2fb0, v51
	v_mul_f32_e32 v63, 0xbf2c7751, v77
	v_add_f32_e32 v37, v11, v29
	v_dual_mul_f32 v53, 0xbf65296c, v96 :: v_dual_sub_f32 v102, v25, v7
	v_add_f32_e32 v42, v42, v39
	s_delay_alu instid0(VALU_DEP_4)
	v_fmamk_f32 v38, v34, 0x3f3d2fb0, v63
	v_fma_f32 v41, 0x3f3d2fb0, v36, -v64
	v_fma_f32 v39, 0x3f3d2fb0, v37, -v54
	v_mul_f32_e32 v74, 0xbf7ee86f, v89
	v_mul_f32_e32 v55, 0xbf65296c, v101
	v_dual_add_f32 v43, v38, v0 :: v_dual_add_f32 v38, v8, v30
	s_delay_alu instid0(VALU_DEP_4) | instskip(SKIP_2) | instid1(VALU_DEP_4)
	v_dual_add_f32 v41, v41, v1 :: v_dual_add_f32 v44, v39, v40
	v_add_f32_e32 v39, v9, v31
	v_fma_f32 v45, 0x3dbcf732, v37, -v74
	v_fmamk_f32 v46, v38, 0x3ee437d1, v53
	v_mul_f32_e32 v67, 0xbf7ee86f, v81
	v_dual_mul_f32 v75, 0xbf4c4adb, v96 :: v_dual_mul_f32 v76, 0xbf4c4adb, v101
	s_delay_alu instid0(VALU_DEP_3) | instskip(NEXT) | instid1(VALU_DEP_3)
	v_dual_add_f32 v45, v45, v41 :: v_dual_add_f32 v42, v46, v42
	v_fmamk_f32 v40, v35, 0x3dbcf732, v67
	v_mul_f32_e32 v56, 0xbf7ee86f, v102
	s_delay_alu instid0(VALU_DEP_4) | instskip(SKIP_1) | instid1(VALU_DEP_4)
	v_fma_f32 v47, 0xbf1a4643, v39, -v76
	v_dual_fmamk_f32 v46, v38, 0xbf1a4643, v75 :: v_dual_sub_f32 v105, v24, v6
	v_dual_add_f32 v43, v40, v43 :: v_dual_add_f32 v40, v6, v24
	s_delay_alu instid0(VALU_DEP_3) | instskip(SKIP_2) | instid1(VALU_DEP_4)
	v_add_f32_e32 v45, v47, v45
	v_fma_f32 v41, 0x3ee437d1, v39, -v55
	v_mul_f32_e32 v78, 0xbe3c28d5, v102
	v_dual_add_f32 v46, v46, v43 :: v_dual_mul_f32 v79, 0xbe3c28d5, v105
	v_sub_f32_e32 v107, v26, v4
	s_delay_alu instid0(VALU_DEP_4) | instskip(SKIP_3) | instid1(VALU_DEP_3)
	v_dual_add_f32 v44, v41, v44 :: v_dual_add_f32 v41, v7, v25
	v_fmamk_f32 v48, v40, 0x3dbcf732, v56
	v_dual_mul_f32 v58, 0xbf7ee86f, v105 :: v_dual_add_f32 v43, v5, v27
	v_dual_sub_f32 v106, v27, v5 :: v_dual_fmamk_f32 v49, v40, 0xbf7ba420, v78
	v_add_f32_e32 v47, v48, v42
	s_delay_alu instid0(VALU_DEP_3) | instskip(SKIP_1) | instid1(VALU_DEP_4)
	v_fma_f32 v48, 0x3dbcf732, v41, -v58
	v_dual_add_f32 v42, v4, v26 :: v_dual_mul_f32 v61, 0xbf763a35, v107
	v_mul_f32_e32 v57, 0xbf763a35, v106
	v_fma_f32 v59, 0xbf7ba420, v41, -v79
	s_delay_alu instid0(VALU_DEP_4) | instskip(SKIP_1) | instid1(VALU_DEP_4)
	v_add_f32_e32 v48, v48, v44
	v_dual_sub_f32 v108, v21, v15 :: v_dual_sub_f32 v109, v20, v14
	v_fmamk_f32 v60, v42, 0xbe8c1d8e, v57
	s_delay_alu instid0(VALU_DEP_4) | instskip(SKIP_1) | instid1(VALU_DEP_3)
	v_dual_add_f32 v46, v49, v46 :: v_dual_add_f32 v49, v59, v45
	v_mul_f32_e32 v94, 0x3f06c442, v107
	v_dual_mul_f32 v62, 0xbf4c4adb, v108 :: v_dual_add_f32 v47, v60, v47
	v_add_f32_e32 v44, v14, v20
	v_fma_f32 v59, 0xbe8c1d8e, v43, -v61
	v_dual_mul_f32 v92, 0x3f06c442, v106 :: v_dual_add_f32 v45, v15, v21
	v_fma_f32 v65, 0xbf59a7d5, v43, -v94
	s_delay_alu instid0(VALU_DEP_3) | instskip(SKIP_1) | instid1(VALU_DEP_3)
	v_dual_fmamk_f32 v69, v44, 0xbf1a4643, v62 :: v_dual_add_f32 v48, v59, v48
	v_dual_mul_f32 v66, 0xbf4c4adb, v109 :: v_dual_sub_f32 v111, v22, v12
	v_add_f32_e32 v49, v65, v49
	s_delay_alu instid0(VALU_DEP_3) | instskip(NEXT) | instid1(VALU_DEP_3)
	v_dual_add_f32 v65, v69, v47 :: v_dual_fmamk_f32 v60, v42, 0xbf59a7d5, v92
	v_fma_f32 v59, 0xbf1a4643, v45, -v66
	v_dual_mul_f32 v95, 0x3f763a35, v108 :: v_dual_sub_f32 v110, v23, v13
	s_delay_alu instid0(VALU_DEP_3) | instskip(NEXT) | instid1(VALU_DEP_2)
	v_dual_mul_f32 v73, 0xbf06c442, v111 :: v_dual_add_f32 v60, v60, v46
	v_dual_add_f32 v48, v59, v48 :: v_dual_fmamk_f32 v69, v44, 0xbe8c1d8e, v95
	v_dual_mul_f32 v100, 0x3f763a35, v109 :: v_dual_sub_f32 v113, v16, v18
	v_dual_add_f32 v46, v12, v22 :: v_dual_mul_f32 v103, 0x3f65296c, v111
	s_delay_alu instid0(VALU_DEP_3) | instskip(SKIP_1) | instid1(VALU_DEP_4)
	v_dual_mul_f32 v59, 0xbf06c442, v110 :: v_dual_add_f32 v60, v69, v60
	v_add_f32_e32 v47, v13, v23
	v_fma_f32 v70, 0xbe8c1d8e, v45, -v100
	v_mul_f32_e32 v97, 0x3f65296c, v110
	global_wb scope:SCOPE_SE
	s_barrier_signal -1
	v_fma_f32 v69, 0xbf59a7d5, v47, -v73
	v_add_f32_e32 v70, v70, v49
	v_fmamk_f32 v71, v46, 0xbf59a7d5, v59
	v_dual_fmamk_f32 v72, v46, 0x3ee437d1, v97 :: v_dual_add_f32 v49, v19, v17
	s_delay_alu instid0(VALU_DEP_4) | instskip(SKIP_1) | instid1(VALU_DEP_4)
	v_add_f32_e32 v80, v69, v48
	v_fma_f32 v69, 0x3ee437d1, v47, -v103
	v_dual_add_f32 v71, v71, v65 :: v_dual_add_f32 v48, v18, v16
	v_sub_f32_e32 v112, v17, v19
	v_dual_add_f32 v72, v72, v60 :: v_dual_mul_f32 v65, 0xbe3c28d5, v113
	s_delay_alu instid0(VALU_DEP_4) | instskip(SKIP_1) | instid1(VALU_DEP_3)
	v_add_f32_e32 v82, v69, v70
	s_barrier_wait -1
	v_mul_f32_e32 v60, 0xbe3c28d5, v112
	global_inv scope:SCOPE_SE
	v_fma_f32 v70, 0xbf7ba420, v49, -v65
	v_fmamk_f32 v69, v48, 0xbf7ba420, v60
	v_mul_f32_e32 v88, 0x3eb8f4ab, v112
	s_delay_alu instid0(VALU_DEP_2) | instskip(NEXT) | instid1(VALU_DEP_2)
	v_dual_add_f32 v70, v70, v80 :: v_dual_add_f32 v69, v69, v71
	v_fmamk_f32 v90, v48, 0x3f6eb680, v88
	s_delay_alu instid0(VALU_DEP_1) | instskip(NEXT) | instid1(VALU_DEP_1)
	v_dual_mul_f32 v104, 0x3eb8f4ab, v113 :: v_dual_add_f32 v71, v90, v72
	v_fma_f32 v91, 0x3f6eb680, v49, -v104
	s_delay_alu instid0(VALU_DEP_1)
	v_add_f32_e32 v72, v91, v82
	s_and_saveexec_b32 s0, vcc_lo
	s_cbranch_execz .LBB0_7
; %bb.6:
	v_dual_mul_f32 v80, 0xbf4c4adb, v107 :: v_dual_add_f32 v3, v3, v1
	v_mul_f32_e32 v98, 0xbe3c28d5, v93
	v_dual_mul_f32 v91, 0x3eb8f4ab, v89 :: v_dual_add_f32 v2, v2, v0
	v_mul_f32_e32 v99, 0xbe3c28d5, v77
	s_delay_alu instid0(VALU_DEP_3) | instskip(SKIP_1) | instid1(VALU_DEP_4)
	v_dual_add_f32 v3, v29, v3 :: v_dual_fmamk_f32 v114, v36, 0xbf7ba420, v98
	v_mul_f32_e32 v82, 0x3f2c7751, v105
	v_dual_fmamk_f32 v115, v37, 0x3f6eb680, v91 :: v_dual_add_f32 v2, v28, v2
	s_delay_alu instid0(VALU_DEP_3) | instskip(SKIP_2) | instid1(VALU_DEP_4)
	v_dual_add_f32 v3, v31, v3 :: v_dual_add_f32 v116, v114, v1
	v_mul_f32_e32 v90, 0xbf06c442, v101
	v_mul_f32_e32 v114, 0x3eb8f4ab, v81
	v_dual_add_f32 v2, v30, v2 :: v_dual_mul_f32 v117, 0xbf06c442, v96
	s_delay_alu instid0(VALU_DEP_4) | instskip(SKIP_4) | instid1(VALU_DEP_4)
	v_add_f32_e32 v29, v115, v116
	v_fma_f32 v115, 0xbf7ba420, v34, -v99
	v_fmamk_f32 v116, v41, 0x3f3d2fb0, v82
	v_dual_fmamk_f32 v28, v39, 0xbf59a7d5, v90 :: v_dual_add_f32 v3, v25, v3
	v_fma_f32 v31, 0x3f6eb680, v35, -v114
	v_dual_add_f32 v30, v115, v0 :: v_dual_mul_f32 v119, 0x3f2c7751, v102
	s_delay_alu instid0(VALU_DEP_3) | instskip(SKIP_1) | instid1(VALU_DEP_3)
	v_add_f32_e32 v29, v28, v29
	v_dual_fmamk_f32 v115, v43, 0xbf1a4643, v80 :: v_dual_add_f32 v2, v24, v2
	v_dual_add_f32 v30, v31, v30 :: v_dual_mul_f32 v25, 0xbf763a35, v111
	s_delay_alu instid0(VALU_DEP_3) | instskip(SKIP_1) | instid1(VALU_DEP_4)
	v_add_f32_e32 v29, v116, v29
	v_dual_mul_f32 v28, 0x3f65296c, v109 :: v_dual_add_f32 v3, v27, v3
	v_add_f32_e32 v2, v26, v2
	v_fma_f32 v31, 0xbf59a7d5, v38, -v117
	s_delay_alu instid0(VALU_DEP_4) | instskip(SKIP_1) | instid1(VALU_DEP_4)
	v_add_f32_e32 v29, v115, v29
	v_fmamk_f32 v115, v47, 0xbe8c1d8e, v25
	v_dual_add_f32 v3, v21, v3 :: v_dual_add_f32 v2, v20, v2
	v_fmamk_f32 v116, v45, 0x3ee437d1, v28
	v_add_f32_e32 v30, v31, v30
	v_fma_f32 v31, 0x3f3d2fb0, v40, -v119
	s_delay_alu instid0(VALU_DEP_4) | instskip(NEXT) | instid1(VALU_DEP_4)
	v_add_f32_e32 v3, v23, v3
	v_dual_mul_f32 v121, 0xbf4c4adb, v106 :: v_dual_add_f32 v24, v116, v29
	s_delay_alu instid0(VALU_DEP_3) | instskip(SKIP_1) | instid1(VALU_DEP_3)
	v_dual_mul_f32 v29, 0x3f65296c, v108 :: v_dual_add_f32 v30, v31, v30
	v_mul_f32_e32 v21, 0x3f7ee86f, v113
	v_fma_f32 v31, 0xbf1a4643, v42, -v121
	s_delay_alu instid0(VALU_DEP_4) | instskip(NEXT) | instid1(VALU_DEP_4)
	v_dual_add_f32 v24, v115, v24 :: v_dual_add_f32 v3, v17, v3
	v_fma_f32 v27, 0x3ee437d1, v44, -v29
	v_mul_f32_e32 v20, 0xbf763a35, v110
	s_delay_alu instid0(VALU_DEP_4) | instskip(SKIP_3) | instid1(VALU_DEP_4)
	v_dual_add_f32 v26, v31, v30 :: v_dual_mul_f32 v127, 0x3f65296c, v89
	v_mul_f32_e32 v124, 0xbf06c442, v93
	v_dual_add_f32 v2, v22, v2 :: v_dual_mul_f32 v17, 0x3f7ee86f, v112
	v_add_f32_e32 v19, v19, v3
	v_dual_add_f32 v22, v27, v26 :: v_dual_fmamk_f32 v3, v37, 0x3ee437d1, v127
	s_delay_alu instid0(VALU_DEP_4) | instskip(NEXT) | instid1(VALU_DEP_4)
	v_fmamk_f32 v26, v36, 0xbf59a7d5, v124
	v_dual_add_f32 v2, v16, v2 :: v_dual_mul_f32 v27, 0xbf7ee86f, v101
	s_delay_alu instid0(VALU_DEP_4) | instskip(SKIP_2) | instid1(VALU_DEP_4)
	v_add_f32_e32 v13, v13, v19
	v_fma_f32 v23, 0xbe8c1d8e, v46, -v20
	v_mul_f32_e32 v122, 0xbf06c442, v77
	v_add_f32_e32 v18, v18, v2
	v_add_f32_e32 v16, v26, v1
	v_add_f32_e32 v13, v15, v13
	v_fmamk_f32 v30, v39, 0x3dbcf732, v27
	v_dual_add_f32 v22, v23, v22 :: v_dual_mul_f32 v123, 0x3f65296c, v81
	v_fma_f32 v23, 0x3dbcf732, v48, -v17
	s_delay_alu instid0(VALU_DEP_4) | instskip(SKIP_2) | instid1(VALU_DEP_4)
	v_dual_add_f32 v5, v5, v13 :: v_dual_add_f32 v12, v12, v18
	v_mul_f32_e32 v118, 0xbe3c28d5, v109
	v_mul_f32_e32 v120, 0x3f4c4adb, v105
	v_add_f32_e32 v2, v23, v22
	s_delay_alu instid0(VALU_DEP_4) | instskip(SKIP_3) | instid1(VALU_DEP_4)
	v_dual_add_f32 v5, v7, v5 :: v_dual_add_f32 v12, v14, v12
	v_fma_f32 v22, 0xbf59a7d5, v34, -v122
	v_fmamk_f32 v26, v49, 0x3dbcf732, v21
	v_mul_f32_e32 v23, 0xbf7ee86f, v96
	v_dual_add_f32 v5, v9, v5 :: v_dual_add_f32 v4, v4, v12
	v_mul_f32_e32 v131, 0xbf4c4adb, v77
	v_add_f32_e32 v19, v22, v0
	v_fma_f32 v22, 0x3ee437d1, v35, -v123
	v_add_f32_e32 v16, v3, v16
	v_dual_add_f32 v4, v6, v4 :: v_dual_mul_f32 v129, 0xbf06c442, v102
	v_mul_f32_e32 v125, 0x3f2c7751, v111
	s_delay_alu instid0(VALU_DEP_4) | instskip(NEXT) | instid1(VALU_DEP_4)
	v_add_f32_e32 v15, v22, v19
	v_add_f32_e32 v16, v30, v16
	v_mul_f32_e32 v30, 0xbeb8f4ab, v107
	v_add_f32_e32 v4, v8, v4
	v_fmamk_f32 v18, v41, 0xbf1a4643, v120
	v_dual_mul_f32 v152, 0xbe3c28d5, v111 :: v_dual_mul_f32 v139, 0xbe3c28d5, v106
	s_delay_alu instid0(VALU_DEP_4) | instskip(NEXT) | instid1(VALU_DEP_4)
	v_fmamk_f32 v13, v43, 0x3f6eb680, v30
	v_add_f32_e32 v9, v10, v4
	s_delay_alu instid0(VALU_DEP_4) | instskip(SKIP_3) | instid1(VALU_DEP_4)
	v_add_f32_e32 v14, v18, v16
	v_add_f32_e32 v3, v26, v24
	v_fma_f32 v16, 0x3dbcf732, v38, -v23
	v_dual_add_f32 v8, v11, v5 :: v_dual_mul_f32 v115, 0x3f7ee86f, v106
	v_add_f32_e32 v6, v13, v14
	v_fmamk_f32 v13, v45, 0xbf7ba420, v118
	v_dual_mul_f32 v26, 0xbeb8f4ab, v106 :: v_dual_mul_f32 v155, 0xbeb8f4ab, v101
	v_mul_f32_e32 v22, 0xbe3c28d5, v108
	v_mul_f32_e32 v18, 0x3f2c7751, v110
	s_delay_alu instid0(VALU_DEP_4)
	v_dual_add_f32 v5, v13, v6 :: v_dual_fmamk_f32 v6, v47, 0x3f3d2fb0, v125
	v_mul_f32_e32 v24, 0x3f4c4adb, v102
	v_fmamk_f32 v13, v47, 0xbf7ba420, v152
	v_mul_f32_e32 v126, 0xbf763a35, v113
	v_fma_f32 v4, 0xbf7ba420, v44, -v22
	v_add_f32_e32 v5, v6, v5
	v_fma_f32 v7, 0xbf1a4643, v40, -v24
	v_mul_f32_e32 v151, 0xbf2c7751, v109
	v_fmamk_f32 v6, v49, 0xbe8c1d8e, v126
	v_add_f32_e32 v12, v16, v15
	v_dual_mul_f32 v16, 0xbf763a35, v112 :: v_dual_mul_f32 v153, 0xbf763a35, v93
	v_mul_f32_e32 v132, 0x3f763a35, v81
	s_delay_alu instid0(VALU_DEP_4) | instskip(NEXT) | instid1(VALU_DEP_4)
	v_add_f32_e32 v5, v6, v5
	v_add_f32_e32 v7, v7, v12
	v_fma_f32 v12, 0x3f6eb680, v42, -v26
	v_mul_f32_e32 v31, 0xbe3c28d5, v110
	v_fma_f32 v11, 0xbe8c1d8e, v35, -v132
	v_mul_f32_e32 v128, 0xbeb8f4ab, v96
	s_delay_alu instid0(VALU_DEP_4) | instskip(SKIP_3) | instid1(VALU_DEP_4)
	v_dual_mul_f32 v116, 0xbf2c7751, v108 :: v_dual_add_f32 v7, v12, v7
	v_mul_f32_e32 v140, 0xbf4c4adb, v93
	v_mul_f32_e32 v168, 0xbf65296c, v77
	;; [unrolled: 1-line block ×3, first 2 shown]
	v_fma_f32 v12, 0x3f3d2fb0, v44, -v116
	v_add_f32_e32 v4, v4, v7
	v_fma_f32 v7, 0x3f3d2fb0, v46, -v18
	v_mul_f32_e32 v158, 0xbf65296c, v105
	v_dual_mul_f32 v150, 0x3f7ee86f, v107 :: v_dual_mul_f32 v141, 0x3f7ee86f, v108
	v_mul_f32_e32 v160, 0x3f7ee86f, v109
	s_delay_alu instid0(VALU_DEP_4) | instskip(SKIP_4) | instid1(VALU_DEP_4)
	v_add_f32_e32 v4, v7, v4
	v_fma_f32 v7, 0xbe8c1d8e, v48, -v16
	v_mul_f32_e32 v148, 0x3f2c7751, v96
	v_mul_f32_e32 v138, 0xbf65296c, v102
	v_dual_mul_f32 v167, 0xbf06c442, v109 :: v_dual_mul_f32 v130, 0xbf06c442, v108
	v_dual_add_f32 v4, v7, v4 :: v_dual_mul_f32 v143, 0x3f65296c, v113
	v_fma_f32 v7, 0xbf1a4643, v34, -v131
	v_mul_f32_e32 v173, 0xbf4c4adb, v89
	s_delay_alu instid0(VALU_DEP_4)
	v_fma_f32 v137, 0xbf59a7d5, v44, -v130
	v_mul_f32_e32 v171, 0xbe3c28d5, v89
	v_mul_f32_e32 v169, 0xbf4c4adb, v81
	v_dual_add_f32 v7, v7, v0 :: v_dual_mul_f32 v174, 0x3e3c28d5, v101
	v_mul_f32_e32 v136, 0x3eb8f4ab, v102
	v_mul_f32_e32 v134, 0xbf65296c, v106
	s_delay_alu instid0(VALU_DEP_3)
	v_dual_mul_f32 v170, 0xbf65296c, v93 :: v_dual_add_f32 v7, v11, v7
	v_fma_f32 v11, 0x3f6eb680, v38, -v128
	v_mul_f32_e32 v147, 0x3f06c442, v81
	v_mul_f32_e32 v144, 0x3f4c4adb, v111
	v_fmac_f32_e32 v122, 0xbf59a7d5, v34
	v_fma_f32 v25, 0xbe8c1d8e, v47, -v25
	v_add_f32_e32 v7, v11, v7
	v_fma_f32 v11, 0xbf59a7d5, v40, -v129
	v_mul_f32_e32 v19, 0x3f65296c, v112
	v_fma_f32 v15, 0xbf59a7d5, v35, -v147
	v_fma_f32 v28, 0x3ee437d1, v45, -v28
	;; [unrolled: 1-line block ×3, first 2 shown]
	v_add_f32_e32 v7, v11, v7
	v_fma_f32 v11, 0x3dbcf732, v42, -v115
	v_fmac_f32_e32 v24, 0xbf1a4643, v40
	v_fma_f32 v27, 0x3dbcf732, v39, -v27
	v_fmac_f32_e32 v22, 0xbf7ba420, v44
	v_mul_f32_e32 v161, 0xbf7ee86f, v77
	v_add_f32_e32 v11, v11, v7
	v_add_f32_e32 v7, v33, v8
	v_fma_f32 v77, 0x3ee437d1, v34, -v168
	v_mul_f32_e32 v162, 0xbe3c28d5, v81
	s_delay_alu instid0(VALU_DEP_4)
	v_dual_fmamk_f32 v81, v37, 0xbf1a4643, v173 :: v_dual_add_f32 v8, v12, v11
	v_fma_f32 v11, 0xbf7ba420, v46, -v31
	v_fma_f32 v12, 0x3ee437d1, v48, -v19
	v_add_f32_e32 v77, v77, v0
	v_fma_f32 v33, 0xbf7ba420, v35, -v162
	v_mul_f32_e32 v164, 0x3f06c442, v89
	v_dual_add_f32 v8, v11, v8 :: v_dual_fmamk_f32 v11, v36, 0xbe8c1d8e, v153
	v_fmamk_f32 v6, v36, 0xbf1a4643, v140
	v_mul_f32_e32 v172, 0x3f763a35, v101
	s_delay_alu instid0(VALU_DEP_4) | instskip(NEXT) | instid1(VALU_DEP_4)
	v_fmamk_f32 v14, v37, 0xbf59a7d5, v164
	v_dual_add_f32 v8, v12, v8 :: v_dual_add_f32 v11, v11, v1
	s_delay_alu instid0(VALU_DEP_4)
	v_add_f32_e32 v6, v6, v1
	v_mul_f32_e32 v154, 0x3f763a35, v89
	v_mul_f32_e32 v157, 0x3f2c7751, v101
	v_fma_f32 v89, 0xbf1a4643, v35, -v169
	v_add_f32_e32 v11, v14, v11
	v_mul_f32_e32 v101, 0x3f763a35, v102
	v_fmamk_f32 v10, v37, 0xbe8c1d8e, v154
	v_fmamk_f32 v14, v39, 0x3f3d2fb0, v157
	v_fmac_f32_e32 v16, 0xbe8c1d8e, v48
	v_fmac_f32_e32 v162, 0xbf7ba420, v35
	;; [unrolled: 1-line block ×3, first 2 shown]
	v_add_f32_e32 v6, v10, v6
	v_dual_add_f32 v11, v14, v11 :: v_dual_fmamk_f32 v14, v41, 0x3ee437d1, v158
	v_fmamk_f32 v10, v39, 0x3f6eb680, v155
	v_mul_f32_e32 v159, 0xbe3c28d5, v107
	v_mul_f32_e32 v149, 0xbeb8f4ab, v111
	;; [unrolled: 1-line block ×3, first 2 shown]
	v_add_f32_e32 v11, v14, v11
	v_add_f32_e32 v6, v10, v6
	v_fmamk_f32 v14, v43, 0xbf7ba420, v159
	v_mul_f32_e32 v156, 0xbf06c442, v105
	v_mul_f32_e32 v135, 0xbf4c4adb, v112
	;; [unrolled: 1-line block ×4, first 2 shown]
	s_delay_alu instid0(VALU_DEP_4) | instskip(SKIP_3) | instid1(VALU_DEP_4)
	v_dual_add_f32 v11, v14, v11 :: v_dual_fmamk_f32 v10, v41, 0xbf59a7d5, v156
	v_fmamk_f32 v14, v45, 0x3dbcf732, v160
	v_mul_f32_e32 v96, 0x3e3c28d5, v96
	v_mul_f32_e32 v165, 0x3eb8f4ab, v105
	v_dual_mul_f32 v105, 0x3f763a35, v105 :: v_dual_add_f32 v6, v10, v6
	s_delay_alu instid0(VALU_DEP_4) | instskip(SKIP_2) | instid1(VALU_DEP_3)
	v_dual_fmamk_f32 v10, v43, 0x3dbcf732, v150 :: v_dual_add_f32 v11, v14, v11
	v_dual_fmamk_f32 v14, v47, 0x3f6eb680, v149 :: v_dual_add_f32 v77, v89, v77
	v_fma_f32 v89, 0xbf7ba420, v38, -v96
	v_add_f32_e32 v6, v10, v6
	s_delay_alu instid0(VALU_DEP_3) | instskip(NEXT) | instid1(VALU_DEP_3)
	v_dual_fmamk_f32 v10, v45, 0x3f3d2fb0, v151 :: v_dual_add_f32 v11, v14, v11
	v_dual_mul_f32 v166, 0xbf65296c, v107 :: v_dual_add_f32 v77, v89, v77
	v_fma_f32 v89, 0xbe8c1d8e, v40, -v101
	s_delay_alu instid0(VALU_DEP_3)
	v_add_f32_e32 v10, v10, v6
	v_add_f32_e32 v6, v32, v9
	v_fmamk_f32 v32, v37, 0xbf7ba420, v171
	v_mul_f32_e32 v142, 0xbf4c4adb, v113
	v_fma_f32 v14, 0xbf1a4643, v48, -v135
	v_add_f32_e32 v9, v13, v10
	v_fma_f32 v13, 0xbe8c1d8e, v34, -v146
	v_fmamk_f32 v10, v49, 0x3ee437d1, v143
	v_dual_add_f32 v93, v89, v77 :: v_dual_mul_f32 v102, 0x3f2c7751, v106
	v_dual_mul_f32 v106, 0xbeb8f4ab, v109 :: v_dual_mul_f32 v77, 0xbeb8f4ab, v108
	s_delay_alu instid0(VALU_DEP_4) | instskip(NEXT) | instid1(VALU_DEP_4)
	v_add_f32_e32 v13, v13, v0
	v_add_f32_e32 v9, v10, v9
	v_mul_f32_e32 v89, 0xbf7ee86f, v111
	v_fmac_f32_e32 v96, 0xbf7ba420, v38
	s_delay_alu instid0(VALU_DEP_4)
	v_dual_fmamk_f32 v108, v45, 0x3f6eb680, v106 :: v_dual_add_f32 v13, v15, v13
	v_fma_f32 v15, 0x3f3d2fb0, v38, -v148
	v_fma_f32 v109, 0x3f3d2fb0, v42, -v102
	;; [unrolled: 1-line block ×3, first 2 shown]
	v_mul_f32_e32 v107, 0x3f2c7751, v107
	v_fmac_f32_e32 v99, 0xbf7ba420, v34
	v_add_f32_e32 v13, v15, v13
	v_fma_f32 v15, 0x3ee437d1, v40, -v138
	v_add_f32_e32 v109, v109, v93
	v_mul_f32_e32 v93, 0xbf06c442, v113
	v_fmac_f32_e32 v102, 0x3f3d2fb0, v42
	v_fmac_f32_e32 v117, 0xbf59a7d5, v38
	v_add_f32_e32 v13, v15, v13
	v_fma_f32 v15, 0xbf7ba420, v42, -v139
	v_add_f32_e32 v109, v111, v109
	v_mul_f32_e32 v111, 0x3dbcf732, v37
	v_fmac_f32_e32 v121, 0xbf1a4643, v42
	v_fmac_f32_e32 v119, 0x3f3d2fb0, v40
	v_add_f32_e32 v13, v15, v13
	v_fma_f32 v15, 0x3dbcf732, v44, -v141
	v_fmac_f32_e32 v29, 0x3ee437d1, v44
	v_fmac_f32_e32 v123, 0x3ee437d1, v35
	;; [unrolled: 1-line block ×3, first 2 shown]
	s_delay_alu instid0(VALU_DEP_4) | instskip(SKIP_4) | instid1(VALU_DEP_4)
	v_dual_fmac_f32 v23, 0x3dbcf732, v38 :: v_dual_add_f32 v10, v15, v13
	v_fma_f32 v13, 0x3f6eb680, v46, -v133
	v_fma_f32 v15, 0x3dbcf732, v34, -v161
	v_fmac_f32_e32 v131, 0xbf1a4643, v34
	v_fmac_f32_e32 v129, 0xbf59a7d5, v40
	v_dual_fmac_f32 v19, 0x3ee437d1, v48 :: v_dual_add_f32 v10, v13, v10
	v_fmamk_f32 v13, v36, 0x3dbcf732, v163
	v_add_f32_e32 v15, v15, v0
	v_fmac_f32_e32 v31, 0xbf7ba420, v46
	v_fmac_f32_e32 v115, 0x3dbcf732, v42
	s_delay_alu instid0(VALU_DEP_4) | instskip(NEXT) | instid1(VALU_DEP_4)
	v_dual_add_f32 v10, v14, v10 :: v_dual_add_f32 v13, v13, v1
	v_add_f32_e32 v15, v33, v15
	v_fma_f32 v33, 0xbe8c1d8e, v38, -v145
	v_fmac_f32_e32 v133, 0x3f6eb680, v46
	s_delay_alu instid0(VALU_DEP_4) | instskip(NEXT) | instid1(VALU_DEP_3)
	v_dual_fmac_f32 v148, 0x3f3d2fb0, v38 :: v_dual_add_f32 v13, v32, v13
	v_dual_fmamk_f32 v32, v39, 0xbe8c1d8e, v172 :: v_dual_add_f32 v15, v33, v15
	v_fma_f32 v33, 0x3f6eb680, v40, -v136
	v_fmac_f32_e32 v147, 0xbf59a7d5, v35
	v_fmac_f32_e32 v161, 0x3dbcf732, v34
	s_delay_alu instid0(VALU_DEP_4) | instskip(NEXT) | instid1(VALU_DEP_4)
	v_dual_add_f32 v13, v32, v13 :: v_dual_fmamk_f32 v32, v41, 0x3f6eb680, v165
	v_add_f32_e32 v15, v33, v15
	v_fma_f32 v33, 0x3ee437d1, v42, -v134
	v_fmac_f32_e32 v141, 0x3dbcf732, v44
	s_delay_alu instid0(VALU_DEP_4) | instskip(NEXT) | instid1(VALU_DEP_3)
	v_dual_fmac_f32 v146, 0xbe8c1d8e, v34 :: v_dual_add_f32 v13, v32, v13
	v_dual_fmamk_f32 v32, v43, 0x3ee437d1, v166 :: v_dual_add_f32 v15, v33, v15
	v_mul_f32_e32 v33, 0x3f4c4adb, v110
	v_fmac_f32_e32 v138, 0x3ee437d1, v40
	v_fmac_f32_e32 v145, 0xbe8c1d8e, v38
	s_delay_alu instid0(VALU_DEP_4) | instskip(SKIP_3) | instid1(VALU_DEP_4)
	v_dual_add_f32 v13, v32, v13 :: v_dual_fmamk_f32 v32, v45, 0xbf59a7d5, v167
	v_fmac_f32_e32 v139, 0xbf7ba420, v42
	v_fmac_f32_e32 v135, 0xbf1a4643, v48
	;; [unrolled: 1-line block ×3, first 2 shown]
	v_dual_add_f32 v13, v32, v13 :: v_dual_fmamk_f32 v32, v47, 0xbf1a4643, v144
	s_delay_alu instid0(VALU_DEP_1) | instskip(NEXT) | instid1(VALU_DEP_1)
	v_dual_fmamk_f32 v12, v49, 0xbf1a4643, v142 :: v_dual_add_f32 v13, v32, v13
	v_add_f32_e32 v11, v12, v11
	v_add_f32_e32 v12, v137, v15
	v_fma_f32 v15, 0xbf1a4643, v46, -v33
	v_dual_mul_f32 v32, 0x3f2c7751, v112 :: v_dual_mul_f32 v137, 0x3f2c7751, v113
	s_delay_alu instid0(VALU_DEP_2) | instskip(SKIP_1) | instid1(VALU_DEP_3)
	v_dual_fmac_f32 v33, 0xbf1a4643, v46 :: v_dual_add_f32 v12, v15, v12
	v_fmamk_f32 v15, v36, 0x3ee437d1, v170
	v_fma_f32 v175, 0x3f3d2fb0, v48, -v32
	s_delay_alu instid0(VALU_DEP_2) | instskip(NEXT) | instid1(VALU_DEP_2)
	v_dual_fmac_f32 v32, 0x3f3d2fb0, v48 :: v_dual_add_f32 v15, v15, v1
	v_dual_add_f32 v12, v175, v12 :: v_dual_fmac_f32 v169, 0xbf1a4643, v35
	s_delay_alu instid0(VALU_DEP_2) | instskip(SKIP_1) | instid1(VALU_DEP_1)
	v_add_f32_e32 v15, v81, v15
	v_fmamk_f32 v81, v39, 0xbf7ba420, v174
	v_add_f32_e32 v15, v81, v15
	v_fmamk_f32 v81, v41, 0xbe8c1d8e, v105
	s_delay_alu instid0(VALU_DEP_1) | instskip(SKIP_1) | instid1(VALU_DEP_1)
	v_dual_fmac_f32 v136, 0x3f6eb680, v40 :: v_dual_add_f32 v15, v81, v15
	v_fmamk_f32 v81, v43, 0x3f3d2fb0, v107
	v_dual_fmac_f32 v134, 0x3ee437d1, v42 :: v_dual_add_f32 v15, v81, v15
	v_mul_f32_e32 v81, 0xbf7ee86f, v110
	s_delay_alu instid0(VALU_DEP_2) | instskip(NEXT) | instid1(VALU_DEP_2)
	v_dual_add_f32 v15, v108, v15 :: v_dual_fmamk_f32 v108, v47, 0x3dbcf732, v89
	v_fma_f32 v110, 0x3dbcf732, v46, -v81
	s_delay_alu instid0(VALU_DEP_1) | instskip(NEXT) | instid1(VALU_DEP_1)
	v_dual_fmamk_f32 v14, v49, 0x3f3d2fb0, v137 :: v_dual_add_f32 v109, v110, v109
	v_dual_add_f32 v13, v14, v13 :: v_dual_add_f32 v14, v108, v15
	v_mul_f32_e32 v108, 0xbf06c442, v112
	v_fmamk_f32 v15, v49, 0xbf59a7d5, v93
	v_mul_f32_e32 v110, 0x3f3d2fb0, v36
	s_delay_alu instid0(VALU_DEP_2) | instskip(SKIP_1) | instid1(VALU_DEP_3)
	v_dual_mul_f32 v112, 0x3dbcf732, v35 :: v_dual_add_f32 v15, v15, v14
	v_mul_f32_e32 v14, 0x3f3d2fb0, v34
	v_add_f32_e32 v64, v64, v110
	s_delay_alu instid0(VALU_DEP_3)
	v_sub_f32_e32 v67, v112, v67
	v_fma_f32 v110, 0xbf59a7d5, v48, -v108
	v_fmac_f32_e32 v108, 0xbf59a7d5, v48
	v_sub_f32_e32 v14, v14, v63
	v_dual_add_f32 v63, v74, v111 :: v_dual_add_f32 v64, v64, v1
	v_dual_mul_f32 v74, 0xbf1a4643, v39 :: v_dual_mul_f32 v111, 0xbf1a4643, v38
	s_delay_alu instid0(VALU_DEP_3) | instskip(SKIP_1) | instid1(VALU_DEP_3)
	v_add_f32_e32 v14, v14, v0
	v_fmac_f32_e32 v101, 0xbe8c1d8e, v40
	v_dual_add_f32 v63, v63, v64 :: v_dual_add_f32 v64, v76, v74
	v_mul_f32_e32 v74, 0xbf7ba420, v41
	s_delay_alu instid0(VALU_DEP_4) | instskip(SKIP_2) | instid1(VALU_DEP_4)
	v_add_f32_e32 v14, v67, v14
	v_sub_f32_e32 v67, v111, v75
	v_mul_f32_e32 v75, 0xbf7ba420, v40
	v_dual_add_f32 v63, v64, v63 :: v_dual_add_f32 v64, v79, v74
	v_mul_f32_e32 v74, 0xbf59a7d5, v43
	s_delay_alu instid0(VALU_DEP_4) | instskip(NEXT) | instid1(VALU_DEP_4)
	v_add_f32_e32 v14, v67, v14
	v_sub_f32_e32 v67, v75, v78
	v_mul_f32_e32 v75, 0xbf59a7d5, v42
	s_delay_alu instid0(VALU_DEP_4) | instskip(SKIP_1) | instid1(VALU_DEP_4)
	v_dual_add_f32 v63, v64, v63 :: v_dual_add_f32 v64, v94, v74
	v_mul_f32_e32 v74, 0xbe8c1d8e, v45
	v_add_f32_e32 v14, v67, v14
	s_delay_alu instid0(VALU_DEP_4) | instskip(SKIP_3) | instid1(VALU_DEP_4)
	v_sub_f32_e32 v67, v75, v92
	v_mul_f32_e32 v75, 0xbe8c1d8e, v44
	v_add_f32_e32 v63, v64, v63
	v_add_f32_e32 v64, v100, v74
	v_dual_mul_f32 v74, 0x3ee437d1, v47 :: v_dual_add_f32 v67, v67, v14
	s_delay_alu instid0(VALU_DEP_4) | instskip(NEXT) | instid1(VALU_DEP_2)
	v_dual_sub_f32 v75, v75, v95 :: v_dual_mul_f32 v76, 0x3f6eb680, v49
	v_dual_add_f32 v63, v64, v63 :: v_dual_add_f32 v74, v103, v74
	s_delay_alu instid0(VALU_DEP_2) | instskip(SKIP_1) | instid1(VALU_DEP_3)
	v_dual_mul_f32 v64, 0x3ee437d1, v46 :: v_dual_add_f32 v67, v75, v67
	v_mul_f32_e32 v75, 0x3f6eb680, v36
	v_dual_mul_f32 v78, 0x3f3d2fb0, v37 :: v_dual_add_f32 v63, v74, v63
	s_delay_alu instid0(VALU_DEP_3) | instskip(SKIP_1) | instid1(VALU_DEP_4)
	v_sub_f32_e32 v64, v64, v97
	v_add_f32_e32 v74, v104, v76
	v_add_f32_e32 v52, v52, v75
	s_delay_alu instid0(VALU_DEP_4) | instskip(NEXT) | instid1(VALU_DEP_4)
	v_dual_add_f32 v54, v54, v78 :: v_dual_mul_f32 v75, 0x3ee437d1, v39
	v_dual_add_f32 v64, v64, v67 :: v_dual_mul_f32 v67, 0x3f6eb680, v34
	v_mul_f32_e32 v78, 0x3f3d2fb0, v35
	s_delay_alu instid0(VALU_DEP_4) | instskip(SKIP_1) | instid1(VALU_DEP_3)
	v_add_f32_e32 v52, v52, v1
	v_dual_add_f32 v14, v110, v109 :: v_dual_fmac_f32 v81, 0x3dbcf732, v46
	v_dual_sub_f32 v50, v67, v50 :: v_dual_sub_f32 v51, v78, v51
	s_delay_alu instid0(VALU_DEP_3) | instskip(SKIP_2) | instid1(VALU_DEP_4)
	v_dual_add_f32 v52, v54, v52 :: v_dual_mul_f32 v67, 0x3ee437d1, v38
	v_dual_add_f32 v54, v55, v75 :: v_dual_mul_f32 v55, 0x3dbcf732, v41
	v_mul_f32_e32 v76, 0x3f6eb680, v48
	v_add_f32_e32 v50, v50, v0
	s_delay_alu instid0(VALU_DEP_3) | instskip(NEXT) | instid1(VALU_DEP_4)
	v_add_f32_e32 v52, v54, v52
	v_add_f32_e32 v54, v58, v55
	v_mul_f32_e32 v55, 0xbe8c1d8e, v43
	v_mul_f32_e32 v58, 0xbf7ba420, v49
	s_delay_alu instid0(VALU_DEP_3) | instskip(NEXT) | instid1(VALU_DEP_3)
	v_add_f32_e32 v52, v54, v52
	v_dual_add_f32 v54, v61, v55 :: v_dual_mul_f32 v55, 0xbf1a4643, v45
	s_delay_alu instid0(VALU_DEP_3) | instskip(NEXT) | instid1(VALU_DEP_2)
	v_add_f32_e32 v58, v65, v58
	v_add_f32_e32 v52, v54, v52
	s_delay_alu instid0(VALU_DEP_3) | instskip(SKIP_3) | instid1(VALU_DEP_4)
	v_add_f32_e32 v54, v66, v55
	v_dual_mul_f32 v55, 0xbf59a7d5, v47 :: v_dual_add_f32 v50, v51, v50
	v_sub_f32_e32 v51, v67, v53
	v_mul_f32_e32 v53, 0x3dbcf732, v40
	v_add_f32_e32 v52, v54, v52
	s_delay_alu instid0(VALU_DEP_4) | instskip(NEXT) | instid1(VALU_DEP_3)
	v_add_f32_e32 v54, v73, v55
	v_dual_add_f32 v50, v51, v50 :: v_dual_sub_f32 v51, v53, v56
	v_dual_mul_f32 v56, 0xbe8c1d8e, v42 :: v_dual_sub_f32 v53, v76, v88
	s_delay_alu instid0(VALU_DEP_3) | instskip(NEXT) | instid1(VALU_DEP_3)
	v_add_f32_e32 v52, v54, v52
	v_add_f32_e32 v50, v51, v50
	s_delay_alu instid0(VALU_DEP_3) | instskip(SKIP_1) | instid1(VALU_DEP_2)
	v_dual_sub_f32 v56, v56, v57 :: v_dual_mul_f32 v57, 0xbf1a4643, v44
	v_add_f32_e32 v51, v74, v63
	v_add_f32_e32 v55, v56, v50
	s_delay_alu instid0(VALU_DEP_3) | instskip(SKIP_1) | instid1(VALU_DEP_2)
	v_sub_f32_e32 v56, v57, v62
	v_fma_f32 v57, 0xbf7ba420, v36, -v98
	v_dual_add_f32 v50, v53, v64 :: v_dual_add_f32 v53, v56, v55
	s_delay_alu instid0(VALU_DEP_2) | instskip(SKIP_2) | instid1(VALU_DEP_2)
	v_add_f32_e32 v54, v57, v1
	v_fma_f32 v55, 0x3f6eb680, v37, -v91
	v_mul_f32_e32 v57, 0xbf59a7d5, v46
	v_add_f32_e32 v54, v55, v54
	v_fma_f32 v55, 0xbf59a7d5, v39, -v90
	s_delay_alu instid0(VALU_DEP_1) | instskip(SKIP_1) | instid1(VALU_DEP_2)
	v_dual_sub_f32 v57, v57, v59 :: v_dual_add_f32 v54, v55, v54
	v_fma_f32 v55, 0x3f3d2fb0, v41, -v82
	v_add_f32_e32 v57, v57, v53
	v_mul_f32_e32 v53, 0xbf7ba420, v48
	v_fmac_f32_e32 v114, 0x3f6eb680, v35
	s_delay_alu instid0(VALU_DEP_4) | instskip(SKIP_1) | instid1(VALU_DEP_1)
	v_add_f32_e32 v54, v55, v54
	v_fma_f32 v55, 0xbf1a4643, v43, -v80
	v_dual_sub_f32 v59, v53, v60 :: v_dual_add_f32 v54, v55, v54
	s_delay_alu instid0(VALU_DEP_1) | instskip(NEXT) | instid1(VALU_DEP_1)
	v_add_f32_e32 v28, v28, v54
	v_add_f32_e32 v25, v25, v28
	s_delay_alu instid0(VALU_DEP_1) | instskip(NEXT) | instid1(VALU_DEP_1)
	v_dual_add_f32 v56, v99, v0 :: v_dual_add_f32 v21, v21, v25
	v_add_f32_e32 v56, v114, v56
	s_delay_alu instid0(VALU_DEP_1) | instskip(NEXT) | instid1(VALU_DEP_1)
	v_add_f32_e32 v56, v117, v56
	v_add_f32_e32 v56, v119, v56
	s_delay_alu instid0(VALU_DEP_1) | instskip(SKIP_1) | instid1(VALU_DEP_1)
	v_add_f32_e32 v55, v121, v56
	v_fma_f32 v56, 0xbf59a7d5, v36, -v124
	v_dual_add_f32 v29, v29, v55 :: v_dual_add_f32 v54, v56, v1
	v_fma_f32 v55, 0x3ee437d1, v37, -v127
	s_delay_alu instid0(VALU_DEP_1) | instskip(NEXT) | instid1(VALU_DEP_1)
	v_dual_add_f32 v53, v58, v52 :: v_dual_add_f32 v28, v55, v54
	v_dual_fmac_f32 v20, 0xbe8c1d8e, v46 :: v_dual_add_f32 v25, v27, v28
	v_fma_f32 v27, 0xbf1a4643, v41, -v120
	s_delay_alu instid0(VALU_DEP_2) | instskip(NEXT) | instid1(VALU_DEP_2)
	v_add_f32_e32 v20, v20, v29
	v_add_f32_e32 v25, v27, v25
	v_fma_f32 v27, 0x3f6eb680, v43, -v30
	s_delay_alu instid0(VALU_DEP_1) | instskip(SKIP_1) | instid1(VALU_DEP_1)
	v_add_f32_e32 v25, v27, v25
	v_fma_f32 v27, 0xbf7ba420, v45, -v118
	v_add_f32_e32 v25, v27, v25
	v_add_f32_e32 v29, v122, v0
	v_fma_f32 v27, 0x3f3d2fb0, v47, -v125
	v_add_f32_e32 v20, v17, v20
	v_fma_f32 v17, 0xbf1a4643, v36, -v140
	s_delay_alu instid0(VALU_DEP_4) | instskip(NEXT) | instid1(VALU_DEP_4)
	v_add_f32_e32 v28, v123, v29
	v_add_f32_e32 v25, v27, v25
	;; [unrolled: 1-line block ×3, first 2 shown]
	s_delay_alu instid0(VALU_DEP_4) | instskip(SKIP_3) | instid1(VALU_DEP_2)
	v_add_f32_e32 v17, v17, v1
	v_fma_f32 v29, 0xbf59a7d5, v49, -v93
	v_add_f32_e32 v23, v23, v28
	v_fma_f32 v28, 0xbe8c1d8e, v37, -v154
	v_add_f32_e32 v23, v24, v23
	s_delay_alu instid0(VALU_DEP_2) | instskip(SKIP_1) | instid1(VALU_DEP_1)
	v_add_f32_e32 v17, v28, v17
	v_fma_f32 v24, 0x3f6eb680, v39, -v155
	v_add_f32_e32 v17, v24, v17
	v_fma_f32 v24, 0xbf59a7d5, v41, -v156
	v_fmac_f32_e32 v26, 0x3f6eb680, v42
	s_delay_alu instid0(VALU_DEP_1) | instskip(SKIP_1) | instid1(VALU_DEP_2)
	v_dual_add_f32 v52, v59, v57 :: v_dual_add_f32 v23, v26, v23
	v_fma_f32 v26, 0xbe8c1d8e, v49, -v126
	v_dual_add_f32 v22, v22, v23 :: v_dual_add_f32 v23, v24, v17
	v_fma_f32 v24, 0x3dbcf732, v43, -v150
	s_delay_alu instid0(VALU_DEP_3) | instskip(SKIP_2) | instid1(VALU_DEP_4)
	v_add_f32_e32 v17, v26, v25
	v_fma_f32 v25, 0xbe8c1d8e, v36, -v153
	v_fmac_f32_e32 v18, 0x3f3d2fb0, v46
	v_dual_add_f32 v26, v146, v0 :: v_dual_add_f32 v23, v24, v23
	v_fma_f32 v24, 0x3f3d2fb0, v45, -v151
	s_delay_alu instid0(VALU_DEP_3) | instskip(NEXT) | instid1(VALU_DEP_2)
	v_add_f32_e32 v18, v18, v22
	v_dual_add_f32 v26, v147, v26 :: v_dual_add_f32 v23, v24, v23
	v_fma_f32 v24, 0xbf7ba420, v47, -v152
	s_delay_alu instid0(VALU_DEP_3) | instskip(NEXT) | instid1(VALU_DEP_2)
	v_add_f32_e32 v16, v16, v18
	v_dual_add_f32 v18, v24, v23 :: v_dual_add_f32 v23, v25, v1
	v_fma_f32 v24, 0xbf59a7d5, v37, -v164
	v_fmac_f32_e32 v128, 0x3f6eb680, v38
	v_fma_f32 v25, 0x3ee437d1, v49, -v143
	v_fmac_f32_e32 v132, 0xbe8c1d8e, v35
	s_delay_alu instid0(VALU_DEP_4) | instskip(SKIP_1) | instid1(VALU_DEP_1)
	v_add_f32_e32 v23, v24, v23
	v_fma_f32 v24, 0x3f3d2fb0, v39, -v157
	v_add_f32_e32 v23, v24, v23
	v_fma_f32 v24, 0x3ee437d1, v41, -v158
	s_delay_alu instid0(VALU_DEP_1) | instskip(SKIP_3) | instid1(VALU_DEP_3)
	v_dual_add_f32 v24, v24, v23 :: v_dual_add_f32 v23, v25, v18
	v_add_f32_e32 v22, v132, v27
	v_fma_f32 v27, 0xbf7ba420, v43, -v159
	v_fma_f32 v25, 0x3dbcf732, v45, -v160
	v_add_f32_e32 v22, v128, v22
	s_delay_alu instid0(VALU_DEP_3) | instskip(SKIP_2) | instid1(VALU_DEP_4)
	v_add_f32_e32 v24, v27, v24
	v_fma_f32 v27, 0xbf7ba420, v37, -v171
	v_fmac_f32_e32 v116, 0x3f3d2fb0, v44
	v_add_f32_e32 v22, v129, v22
	s_delay_alu instid0(VALU_DEP_4) | instskip(SKIP_1) | instid1(VALU_DEP_3)
	v_add_f32_e32 v24, v25, v24
	v_fma_f32 v25, 0x3f6eb680, v47, -v149
	v_add_f32_e32 v22, v115, v22
	s_delay_alu instid0(VALU_DEP_1) | instskip(NEXT) | instid1(VALU_DEP_1)
	v_add_f32_e32 v22, v116, v22
	v_add_f32_e32 v18, v31, v22
	;; [unrolled: 1-line block ×3, first 2 shown]
	v_fma_f32 v26, 0x3dbcf732, v36, -v163
	s_delay_alu instid0(VALU_DEP_2) | instskip(NEXT) | instid1(VALU_DEP_2)
	v_add_f32_e32 v22, v138, v22
	v_add_f32_e32 v26, v26, v1
	s_delay_alu instid0(VALU_DEP_2) | instskip(SKIP_1) | instid1(VALU_DEP_3)
	v_add_f32_e32 v28, v139, v22
	v_add_f32_e32 v22, v19, v18
	v_dual_add_f32 v18, v25, v24 :: v_dual_add_f32 v19, v27, v26
	v_fma_f32 v24, 0xbe8c1d8e, v39, -v172
	s_delay_alu instid0(VALU_DEP_4)
	v_add_f32_e32 v25, v141, v28
	v_fma_f32 v26, 0xbf1a4643, v49, -v142
	v_add_f32_e32 v27, v161, v0
	v_fma_f32 v28, 0x3ee437d1, v43, -v166
	;; [unrolled: 2-line block ×3, first 2 shown]
	s_delay_alu instid0(VALU_DEP_1) | instskip(SKIP_2) | instid1(VALU_DEP_3)
	v_dual_add_f32 v25, v133, v25 :: v_dual_add_f32 v24, v24, v19
	v_add_f32_e32 v19, v26, v18
	v_add_f32_e32 v26, v162, v27
	;; [unrolled: 1-line block ×3, first 2 shown]
	v_fma_f32 v25, 0xbf59a7d5, v45, -v167
	v_add_f32_e32 v24, v28, v24
	v_fma_f32 v27, 0x3ee437d1, v36, -v170
	v_fma_f32 v28, 0x3dbcf732, v47, -v89
	s_delay_alu instid0(VALU_DEP_2) | instskip(SKIP_2) | instid1(VALU_DEP_2)
	v_dual_add_f32 v24, v25, v24 :: v_dual_add_f32 v1, v27, v1
	v_fma_f32 v25, 0xbf1a4643, v37, -v173
	v_fma_f32 v27, 0xbf1a4643, v47, -v144
	v_add_f32_e32 v1, v25, v1
	v_fma_f32 v25, 0xbf7ba420, v39, -v174
	s_delay_alu instid0(VALU_DEP_3) | instskip(SKIP_1) | instid1(VALU_DEP_3)
	v_add_f32_e32 v24, v27, v24
	v_fma_f32 v27, 0x3f3d2fb0, v49, -v137
	v_add_f32_e32 v1, v25, v1
	v_fma_f32 v25, 0xbe8c1d8e, v41, -v105
	s_delay_alu instid0(VALU_DEP_1) | instskip(SKIP_1) | instid1(VALU_DEP_1)
	v_add_f32_e32 v1, v25, v1
	v_fma_f32 v25, 0x3f3d2fb0, v43, -v107
	v_add_f32_e32 v1, v25, v1
	v_fma_f32 v25, 0x3f6eb680, v45, -v106
	s_delay_alu instid0(VALU_DEP_1) | instskip(SKIP_2) | instid1(VALU_DEP_3)
	v_add_f32_e32 v1, v25, v1
	v_mul_lo_u16 v25, v86, 17
	v_add_f32_e32 v26, v145, v26
	v_dual_add_f32 v28, v28, v1 :: v_dual_add_f32 v1, v27, v24
	v_fmac_f32_e32 v168, 0x3ee437d1, v34
	s_delay_alu instid0(VALU_DEP_3) | instskip(NEXT) | instid1(VALU_DEP_1)
	v_dual_add_f32 v26, v136, v26 :: v_dual_and_b32 v25, 0xffff, v25
	v_add_lshl_u32 v31, v85, v25, 3
	s_delay_alu instid0(VALU_DEP_4) | instskip(NEXT) | instid1(VALU_DEP_4)
	v_add_f32_e32 v25, v29, v28
	v_add_f32_e32 v0, v168, v0
	s_delay_alu instid0(VALU_DEP_4) | instskip(NEXT) | instid1(VALU_DEP_2)
	v_add_f32_e32 v26, v134, v26
	v_add_f32_e32 v0, v169, v0
	s_delay_alu instid0(VALU_DEP_2) | instskip(NEXT) | instid1(VALU_DEP_2)
	v_add_f32_e32 v26, v130, v26
	v_add_f32_e32 v0, v96, v0
	s_delay_alu instid0(VALU_DEP_2) | instskip(NEXT) | instid1(VALU_DEP_2)
	v_add_f32_e32 v26, v33, v26
	v_add_f32_e32 v0, v101, v0
	s_delay_alu instid0(VALU_DEP_1) | instskip(NEXT) | instid1(VALU_DEP_1)
	v_add_f32_e32 v0, v102, v0
	v_add_f32_e32 v0, v77, v0
	s_delay_alu instid0(VALU_DEP_1) | instskip(SKIP_1) | instid1(VALU_DEP_2)
	v_add_f32_e32 v30, v81, v0
	v_add_f32_e32 v0, v32, v26
	;; [unrolled: 1-line block ×3, first 2 shown]
	ds_store_2addr_b64 v31, v[6:7], v[52:53] offset1:1
	ds_store_2addr_b64 v31, v[50:51], v[14:15] offset0:2 offset1:3
	ds_store_2addr_b64 v31, v[12:13], v[10:11] offset0:4 offset1:5
	;; [unrolled: 1-line block ×7, first 2 shown]
	ds_store_b64 v31, v[69:70] offset:128
.LBB0_7:
	s_wait_alu 0xfffe
	s_or_b32 exec_lo, exec_lo, s0
	v_lshlrev_b32_e32 v48, 5, v86
	s_load_b128 s[4:7], s[4:5], 0x0
	global_wb scope:SCOPE_SE
	s_wait_dscnt 0x0
	s_wait_kmcnt 0x0
	s_barrier_signal -1
	s_barrier_wait -1
	global_inv scope:SCOPE_SE
	s_clause 0x1
	global_load_b128 v[8:11], v48, s[2:3]
	global_load_b128 v[0:3], v48, s[2:3] offset:16
	v_add_co_u32 v36, null, v86, 34
	v_add_lshl_u32 v88, v85, v86, 3
	s_delay_alu instid0(VALU_DEP_2) | instskip(NEXT) | instid1(VALU_DEP_1)
	v_and_b32_e32 v4, 0xff, v36
	v_mul_lo_u16 v4, 0xf1, v4
	s_delay_alu instid0(VALU_DEP_1) | instskip(NEXT) | instid1(VALU_DEP_1)
	v_lshrrev_b16 v4, 12, v4
	v_mul_lo_u16 v4, v4, 17
	s_delay_alu instid0(VALU_DEP_1) | instskip(NEXT) | instid1(VALU_DEP_1)
	v_sub_nc_u16 v49, v36, v4
	v_lshlrev_b16 v4, 2, v49
	s_delay_alu instid0(VALU_DEP_1) | instskip(NEXT) | instid1(VALU_DEP_1)
	v_and_b32_e32 v4, 0xfc, v4
	v_lshlrev_b32_e32 v4, 3, v4
	s_clause 0x1
	global_load_b128 v[12:15], v4, s[2:3]
	global_load_b128 v[4:7], v4, s[2:3] offset:16
	ds_load_2addr_b64 v[20:23], v88 offset1:17
	ds_load_2addr_b64 v[16:19], v88 offset0:34 offset1:51
	ds_load_2addr_b64 v[32:35], v88 offset0:102 offset1:119
	ds_load_2addr_b64 v[24:27], v88 offset0:136 offset1:153
	ds_load_2addr_b64 v[38:41], v88 offset0:204 offset1:221
	ds_load_2addr_b64 v[42:45], v88 offset0:68 offset1:85
	ds_load_2addr_b64 v[28:31], v88 offset0:170 offset1:187
	ds_load_b64 v[46:47], v88 offset:1904
	v_lshlrev_b32_e32 v37, 4, v86
	v_and_b32_e32 v52, 0xff, v49
	global_wb scope:SCOPE_SE
	s_wait_loadcnt_dscnt 0x0
	s_barrier_signal -1
	s_barrier_wait -1
	global_inv scope:SCOPE_SE
	v_mul_f32_e32 v61, v35, v11
	v_mul_f32_e32 v53, v33, v11
	v_add_co_u32 v48, s0, s2, v48
	s_wait_alu 0xf1ff
	v_add_co_ci_u32_e64 v50, null, s3, 0, s0
	v_add_lshl_u32 v89, v85, v52, 3
	s_delay_alu instid0(VALU_DEP_3) | instskip(SKIP_1) | instid1(VALU_DEP_3)
	v_sub_co_u32 v48, s0, v48, v37
	s_wait_alu 0xf1ff
	v_subrev_co_ci_u32_e64 v49, s0, 0, v50, s0
	v_mul_f32_e32 v50, v19, v9
	v_dual_mul_f32 v52, v18, v9 :: v_dual_mul_f32 v65, v41, v3
	v_mul_f32_e32 v55, v27, v1
	v_dual_mul_f32 v54, v32, v11 :: v_dual_add_nc_u32 v51, 0x110, v37
	v_mul_f32_e32 v59, v43, v9
	v_fma_f32 v18, v18, v8, -v50
	v_fmac_f32_e32 v52, v19, v8
	v_fma_f32 v19, v32, v10, -v53
	v_fma_f32 v32, v26, v0, -v55
	v_mul_f32_e32 v57, v39, v3
	v_dual_mul_f32 v58, v38, v3 :: v_dual_mul_f32 v63, v29, v1
	v_mul_f32_e32 v56, v26, v1
	v_fmac_f32_e32 v54, v33, v10
	v_fma_f32 v26, v42, v8, -v59
	v_dual_sub_f32 v59, v19, v32 :: v_dual_mul_f32 v64, v28, v1
	v_mul_f32_e32 v62, v34, v11
	v_fma_f32 v50, v38, v2, -v57
	v_mul_f32_e32 v66, v40, v3
	v_dual_sub_f32 v33, v18, v19 :: v_dual_fmac_f32 v58, v39, v2
	v_dual_add_f32 v53, v21, v52 :: v_dual_mul_f32 v60, v42, v9
	v_fmac_f32_e32 v64, v29, v0
	v_add_f32_e32 v29, v19, v32
	v_dual_fmac_f32 v56, v27, v0 :: v_dual_sub_f32 v57, v18, v50
	v_sub_f32_e32 v39, v19, v18
	v_dual_fmac_f32 v62, v35, v10 :: v_dual_sub_f32 v35, v50, v32
	s_delay_alu instid0(VALU_DEP_3)
	v_dual_add_f32 v55, v54, v56 :: v_dual_fmac_f32 v66, v41, v2
	v_dual_sub_f32 v41, v52, v58 :: v_dual_fmac_f32 v60, v43, v8
	v_fma_f32 v27, v34, v10, -v61
	v_sub_f32_e32 v61, v52, v54
	v_fma_f32 v34, v28, v0, -v63
	v_fma_f32 v42, v40, v2, -v65
	s_delay_alu instid0(VALU_DEP_4)
	v_dual_add_f32 v28, v20, v18 :: v_dual_sub_f32 v77, v26, v27
	v_dual_add_f32 v38, v18, v50 :: v_dual_add_f32 v97, v33, v35
	v_dual_sub_f32 v63, v58, v56 :: v_dual_sub_f32 v40, v32, v50
	v_add_f32_e32 v65, v52, v58
	v_dual_add_f32 v73, v22, v26 :: v_dual_add_f32 v82, v23, v60
	v_dual_add_f32 v90, v62, v64 :: v_dual_sub_f32 v93, v60, v62
	v_dual_sub_f32 v94, v66, v64 :: v_dual_add_f32 v95, v60, v66
	v_sub_f32_e32 v43, v54, v56
	v_dual_sub_f32 v52, v54, v52 :: v_dual_sub_f32 v67, v56, v58
	v_dual_sub_f32 v75, v60, v66 :: v_dual_sub_f32 v76, v62, v64
	v_dual_add_f32 v79, v26, v42 :: v_dual_add_f32 v28, v28, v19
	v_sub_f32_e32 v60, v62, v60
	v_fma_f32 v18, -0.5, v29, v20
	v_add_f32_e32 v29, v53, v54
	v_fma_f32 v20, -0.5, v38, v20
	v_fma_f32 v19, -0.5, v55, v21
	v_sub_f32_e32 v96, v64, v66
	v_dual_add_f32 v74, v27, v34 :: v_dual_add_f32 v35, v73, v27
	v_sub_f32_e32 v80, v27, v26
	v_dual_sub_f32 v92, v27, v34 :: v_dual_add_f32 v53, v61, v63
	v_dual_sub_f32 v81, v34, v42 :: v_dual_add_f32 v98, v39, v40
	v_fma_f32 v21, -0.5, v65, v21
	v_fma_f32 v27, -0.5, v90, v23
	v_dual_fmac_f32 v23, -0.5, v95 :: v_dual_sub_f32 v78, v42, v34
	s_delay_alu instid0(VALU_DEP_4)
	v_add_f32_e32 v55, v80, v81
	v_dual_sub_f32 v91, v26, v42 :: v_dual_add_f32 v52, v52, v67
	v_dual_add_f32 v61, v93, v94 :: v_dual_add_f32 v40, v28, v32
	v_add_f32_e32 v56, v29, v56
	v_dual_fmamk_f32 v29, v57, 0xbf737871, v19 :: v_dual_fmamk_f32 v32, v43, 0xbf737871, v20
	v_fmac_f32_e32 v19, 0x3f737871, v57
	v_dual_add_f32 v39, v82, v62 :: v_dual_add_f32 v60, v60, v96
	v_fmamk_f32 v28, v41, 0x3f737871, v18
	v_dual_add_f32 v54, v77, v78 :: v_dual_fmamk_f32 v33, v59, 0x3f737871, v21
	v_dual_fmac_f32 v18, 0xbf737871, v41 :: v_dual_fmac_f32 v21, 0xbf737871, v59
	v_fmac_f32_e32 v20, 0x3f737871, v43
	v_fma_f32 v26, -0.5, v74, v22
	v_add_f32_e32 v63, v39, v64
	v_fmamk_f32 v39, v92, 0x3f737871, v23
	v_dual_fmac_f32 v23, 0xbf737871, v92 :: v_dual_add_f32 v40, v40, v50
	v_fmac_f32_e32 v29, 0xbf167918, v59
	v_dual_fmac_f32 v28, 0x3f167918, v43 :: v_dual_fmac_f32 v21, 0x3f167918, v57
	v_dual_fmac_f32 v32, 0x3f167918, v41 :: v_dual_fmac_f32 v19, 0x3f167918, v59
	v_add_f32_e32 v62, v35, v34
	v_fmamk_f32 v35, v91, 0xbf737871, v27
	v_fmac_f32_e32 v27, 0x3f737871, v91
	v_dual_fmac_f32 v18, 0xbf167918, v43 :: v_dual_fmac_f32 v33, 0xbf167918, v57
	s_delay_alu instid0(VALU_DEP_3) | instskip(SKIP_1) | instid1(VALU_DEP_3)
	v_dual_fmac_f32 v20, 0xbf167918, v41 :: v_dual_fmac_f32 v35, 0xbf167918, v92
	v_dual_fmamk_f32 v34, v75, 0x3f737871, v26 :: v_dual_add_f32 v41, v56, v58
	v_dual_fmac_f32 v28, 0x3e9e377a, v97 :: v_dual_fmac_f32 v33, 0x3e9e377a, v52
	v_dual_fmac_f32 v32, 0x3e9e377a, v98 :: v_dual_fmac_f32 v29, 0x3e9e377a, v53
	v_dual_fmac_f32 v18, 0x3e9e377a, v97 :: v_dual_fmac_f32 v21, 0x3e9e377a, v52
	v_dual_fmac_f32 v20, 0x3e9e377a, v98 :: v_dual_fmac_f32 v19, 0x3e9e377a, v53
	v_dual_fmac_f32 v26, 0xbf737871, v75 :: v_dual_add_f32 v43, v63, v66
	v_dual_add_f32 v42, v62, v42 :: v_dual_fmac_f32 v27, 0x3f167918, v92
	v_fma_f32 v22, -0.5, v79, v22
	ds_store_2addr_b64 v88, v[40:41], v[28:29] offset1:17
	ds_store_2addr_b64 v88, v[32:33], v[20:21] offset0:34 offset1:51
	ds_store_2addr_b64 v88, v[18:19], v[42:43] offset0:68 offset1:85
	v_dual_mul_f32 v18, v45, v13 :: v_dual_mul_f32 v21, v24, v15
	v_dual_mul_f32 v28, v31, v5 :: v_dual_mul_f32 v33, v46, v7
	v_dual_fmamk_f32 v38, v76, 0xbf737871, v22 :: v_dual_mul_f32 v29, v30, v5
	v_dual_fmac_f32 v22, 0x3f737871, v76 :: v_dual_mul_f32 v19, v44, v13
	s_delay_alu instid0(VALU_DEP_3) | instskip(SKIP_2) | instid1(VALU_DEP_4)
	v_dual_mul_f32 v20, v25, v15 :: v_dual_fmac_f32 v33, v47, v6
	v_fma_f32 v18, v44, v12, -v18
	v_mul_f32_e32 v32, v47, v7
	v_dual_fmac_f32 v22, 0xbf167918, v75 :: v_dual_fmac_f32 v21, v25, v14
	s_delay_alu instid0(VALU_DEP_4) | instskip(SKIP_4) | instid1(VALU_DEP_4)
	v_fma_f32 v20, v24, v14, -v20
	v_fma_f32 v24, v30, v4, -v28
	v_add_f32_e32 v25, v16, v18
	v_fma_f32 v28, v46, v6, -v32
	v_dual_fmac_f32 v38, 0x3f167918, v75 :: v_dual_fmac_f32 v19, v45, v12
	v_add_f32_e32 v30, v20, v24
	v_dual_sub_f32 v40, v18, v20 :: v_dual_sub_f32 v43, v20, v18
	s_delay_alu instid0(VALU_DEP_4)
	v_sub_f32_e32 v41, v28, v24
	v_fmac_f32_e32 v29, v31, v4
	v_dual_fmac_f32 v34, 0x3f167918, v76 :: v_dual_fmac_f32 v23, 0x3f167918, v91
	v_dual_fmac_f32 v26, 0xbf167918, v76 :: v_dual_fmac_f32 v39, 0xbf167918, v91
	v_dual_sub_f32 v31, v19, v33 :: v_dual_add_f32 v42, v18, v28
	v_add_f32_e32 v45, v17, v19
	v_dual_sub_f32 v47, v18, v28 :: v_dual_sub_f32 v52, v19, v21
	v_fma_f32 v18, -0.5, v30, v16
	v_add_f32_e32 v30, v40, v41
	v_dual_sub_f32 v44, v24, v28 :: v_dual_sub_f32 v53, v33, v29
	v_add_f32_e32 v46, v21, v29
	v_sub_f32_e32 v50, v20, v24
	v_add_f32_e32 v20, v25, v20
	v_dual_fmac_f32 v34, 0x3e9e377a, v54 :: v_dual_fmac_f32 v35, 0x3e9e377a, v61
	v_dual_fmac_f32 v26, 0x3e9e377a, v54 :: v_dual_fmac_f32 v27, 0x3e9e377a, v61
	v_add_f32_e32 v41, v52, v53
	v_add_f32_e32 v54, v19, v33
	v_dual_fmac_f32 v38, 0x3e9e377a, v55 :: v_dual_fmac_f32 v39, 0x3e9e377a, v60
	v_dual_fmac_f32 v22, 0x3e9e377a, v55 :: v_dual_fmac_f32 v23, 0x3e9e377a, v60
	v_dual_sub_f32 v55, v21, v19 :: v_dual_add_f32 v40, v43, v44
	v_fma_f32 v19, -0.5, v46, v17
	v_dual_add_f32 v43, v20, v24 :: v_dual_sub_f32 v32, v21, v29
	v_fmac_f32_e32 v17, -0.5, v54
	v_add_f32_e32 v21, v45, v21
	v_fma_f32 v16, -0.5, v42, v16
	v_sub_f32_e32 v56, v29, v33
	v_fmamk_f32 v20, v31, 0x3f737871, v18
	s_delay_alu instid0(VALU_DEP_4) | instskip(NEXT) | instid1(VALU_DEP_4)
	v_dual_fmac_f32 v18, 0xbf737871, v31 :: v_dual_add_f32 v29, v21, v29
	v_dual_fmamk_f32 v21, v47, 0xbf737871, v19 :: v_dual_fmamk_f32 v24, v32, 0xbf737871, v16
	v_dual_fmac_f32 v16, 0x3f737871, v32 :: v_dual_fmamk_f32 v25, v50, 0x3f737871, v17
	v_dual_fmac_f32 v17, 0xbf737871, v50 :: v_dual_add_f32 v42, v55, v56
	v_dual_fmac_f32 v19, 0x3f737871, v47 :: v_dual_add_f32 v28, v43, v28
	s_delay_alu instid0(VALU_DEP_4)
	v_fmac_f32_e32 v21, 0xbf167918, v50
	v_fmac_f32_e32 v20, 0x3f167918, v32
	v_dual_fmac_f32 v18, 0xbf167918, v32 :: v_dual_fmac_f32 v25, 0xbf167918, v47
	v_dual_fmac_f32 v16, 0xbf167918, v31 :: v_dual_add_f32 v29, v29, v33
	v_fmac_f32_e32 v24, 0x3f167918, v31
	v_fmac_f32_e32 v17, 0x3f167918, v47
	;; [unrolled: 1-line block ×3, first 2 shown]
	v_dual_fmac_f32 v20, 0x3e9e377a, v30 :: v_dual_fmac_f32 v21, 0x3e9e377a, v41
	s_delay_alu instid0(VALU_DEP_4) | instskip(NEXT) | instid1(VALU_DEP_4)
	v_dual_fmac_f32 v24, 0x3e9e377a, v40 :: v_dual_fmac_f32 v25, 0x3e9e377a, v42
	v_dual_fmac_f32 v16, 0x3e9e377a, v40 :: v_dual_fmac_f32 v17, 0x3e9e377a, v42
	s_delay_alu instid0(VALU_DEP_4)
	v_dual_fmac_f32 v18, 0x3e9e377a, v30 :: v_dual_fmac_f32 v19, 0x3e9e377a, v41
	ds_store_2addr_b64 v88, v[34:35], v[38:39] offset0:102 offset1:119
	ds_store_2addr_b64 v88, v[22:23], v[26:27] offset0:136 offset1:153
	;; [unrolled: 1-line block ×4, first 2 shown]
	ds_store_b64 v89, v[18:19] offset:1904
	v_lshlrev_b32_e32 v16, 4, v36
	global_wb scope:SCOPE_SE
	s_wait_dscnt 0x0
	s_barrier_signal -1
	s_barrier_wait -1
	global_inv scope:SCOPE_SE
	s_clause 0x2
	global_load_b128 v[32:35], v[48:49], off offset:544
	global_load_b128 v[28:31], v51, s[2:3] offset:544
	global_load_b128 v[24:27], v16, s[2:3] offset:544
	v_add_nc_u32_e32 v17, 0x330, v37
	v_add_nc_u32_e32 v16, 0x440, v37
	s_clause 0x1
	global_load_b128 v[20:23], v17, s[2:3] offset:544
	global_load_b128 v[16:19], v16, s[2:3] offset:544
	ds_load_2addr_b64 v[40:43], v88 offset0:68 offset1:85
	ds_load_2addr_b64 v[36:39], v88 offset0:170 offset1:187
	;; [unrolled: 1-line block ×5, first 2 shown]
	ds_load_2addr_b64 v[52:55], v88 offset1:17
	ds_load_b64 v[64:65], v88 offset:1904
	ds_load_2addr_b64 v[44:47], v88 offset0:34 offset1:51
	v_add_nc_u32_e32 v73, v84, v87
	v_lshl_add_u32 v90, v86, 3, v87
	s_wait_loadcnt_dscnt 0x407
	v_mul_f32_e32 v66, v43, v33
	s_wait_dscnt 0x6
	v_dual_mul_f32 v67, v42, v33 :: v_dual_mul_f32 v74, v37, v35
	s_wait_loadcnt_dscnt 0x305
	v_dual_mul_f32 v75, v36, v35 :: v_dual_mul_f32 v76, v49, v29
	v_mul_f32_e32 v79, v38, v31
	v_dual_mul_f32 v77, v48, v29 :: v_dual_mul_f32 v78, v39, v31
	s_wait_loadcnt 0x2
	v_mul_f32_e32 v81, v50, v25
	s_wait_dscnt 0x4
	v_dual_mul_f32 v80, v51, v25 :: v_dual_mul_f32 v91, v56, v27
	s_wait_loadcnt_dscnt 0x103
	v_dual_mul_f32 v82, v57, v27 :: v_dual_mul_f32 v93, v60, v21
	v_dual_mul_f32 v92, v61, v21 :: v_dual_mul_f32 v95, v58, v23
	s_wait_loadcnt 0x0
	v_dual_mul_f32 v94, v59, v23 :: v_dual_mul_f32 v97, v62, v17
	s_wait_dscnt 0x1
	v_dual_mul_f32 v96, v63, v17 :: v_dual_mul_f32 v99, v64, v19
	v_dual_mul_f32 v98, v65, v19 :: v_dual_fmac_f32 v67, v43, v32
	v_fma_f32 v42, v42, v32, -v66
	v_fma_f32 v36, v36, v34, -v74
	v_fmac_f32_e32 v75, v37, v34
	v_fma_f32 v37, v48, v28, -v76
	v_fmac_f32_e32 v77, v49, v28
	v_fma_f32 v38, v38, v30, -v78
	v_fmac_f32_e32 v79, v39, v30
	v_fma_f32 v39, v50, v24, -v80
	v_fmac_f32_e32 v81, v51, v24
	v_fma_f32 v43, v56, v26, -v82
	v_fmac_f32_e32 v91, v57, v26
	v_fma_f32 v48, v60, v20, -v92
	v_fmac_f32_e32 v93, v61, v20
	v_fma_f32 v49, v58, v22, -v94
	v_add_f32_e32 v78, v39, v43
	v_fma_f32 v50, v62, v16, -v96
	v_dual_fmac_f32 v97, v63, v16 :: v_dual_sub_f32 v76, v37, v38
	v_fma_f32 v51, v64, v18, -v98
	v_dual_fmac_f32 v99, v65, v18 :: v_dual_sub_f32 v92, v39, v43
	v_add_f32_e32 v56, v52, v42
	v_dual_add_f32 v58, v53, v67 :: v_dual_fmac_f32 v95, v59, v22
	v_add_f32_e32 v74, v77, v79
	v_add_f32_e32 v60, v54, v37
	;; [unrolled: 1-line block ×3, first 2 shown]
	v_sub_f32_e32 v42, v42, v36
	v_sub_f32_e32 v62, v67, v75
	;; [unrolled: 1-line block ×3, first 2 shown]
	s_wait_dscnt 0x0
	v_dual_add_f32 v59, v67, v75 :: v_dual_add_f32 v82, v45, v81
	v_dual_add_f32 v61, v37, v38 :: v_dual_add_f32 v94, v48, v49
	v_dual_sub_f32 v63, v77, v79 :: v_dual_add_f32 v98, v47, v93
	v_dual_add_f32 v67, v55, v77 :: v_dual_sub_f32 v96, v93, v95
	v_add_f32_e32 v77, v44, v39
	v_dual_add_f32 v81, v81, v91 :: v_dual_sub_f32 v100, v48, v49
	v_dual_add_f32 v39, v46, v48 :: v_dual_add_f32 v48, v40, v50
	v_dual_add_f32 v93, v93, v95 :: v_dual_add_f32 v36, v56, v36
	;; [unrolled: 1-line block ×3, first 2 shown]
	v_dual_sub_f32 v102, v97, v99 :: v_dual_fmac_f32 v55, -0.5, v74
	v_dual_add_f32 v103, v41, v97 :: v_dual_sub_f32 v104, v50, v51
	v_fma_f32 v64, -0.5, v57, v52
	v_add_f32_e32 v97, v97, v99
	v_add_f32_e32 v37, v58, v75
	v_fma_f32 v65, -0.5, v59, v53
	v_fma_f32 v54, -0.5, v61, v54
	;; [unrolled: 1-line block ×4, first 2 shown]
	v_add_f32_e32 v58, v39, v49
	v_dual_add_f32 v60, v77, v43 :: v_dual_fmac_f32 v47, -0.5, v93
	v_fma_f32 v46, -0.5, v94, v46
	v_fma_f32 v40, -0.5, v101, v40
	v_fmamk_f32 v38, v62, 0x3f5db3d7, v64
	v_dual_add_f32 v48, v48, v51 :: v_dual_fmac_f32 v41, -0.5, v97
	v_add_f32_e32 v67, v67, v79
	v_dual_add_f32 v61, v82, v91 :: v_dual_fmamk_f32 v52, v63, 0x3f5db3d7, v54
	v_add_f32_e32 v59, v98, v95
	v_dual_add_f32 v49, v103, v99 :: v_dual_fmamk_f32 v44, v96, 0x3f5db3d7, v46
	v_dual_fmac_f32 v64, 0xbf5db3d7, v62 :: v_dual_fmamk_f32 v39, v42, 0xbf5db3d7, v65
	v_fmac_f32_e32 v54, 0xbf5db3d7, v63
	v_dual_fmac_f32 v65, 0x3f5db3d7, v42 :: v_dual_fmamk_f32 v50, v102, 0x3f5db3d7, v40
	v_dual_fmamk_f32 v53, v76, 0xbf5db3d7, v55 :: v_dual_fmac_f32 v46, 0xbf5db3d7, v96
	v_dual_fmac_f32 v55, 0x3f5db3d7, v76 :: v_dual_fmamk_f32 v62, v80, 0x3f5db3d7, v56
	v_dual_fmac_f32 v56, 0xbf5db3d7, v80 :: v_dual_fmamk_f32 v63, v92, 0xbf5db3d7, v57
	v_fmac_f32_e32 v40, 0xbf5db3d7, v102
	v_fmac_f32_e32 v57, 0x3f5db3d7, v92
	v_fmamk_f32 v45, v100, 0xbf5db3d7, v47
	v_fmac_f32_e32 v47, 0x3f5db3d7, v100
	v_fmamk_f32 v51, v104, 0xbf5db3d7, v41
	v_fmac_f32_e32 v41, 0x3f5db3d7, v104
	ds_store_2addr_b64 v90, v[36:37], v[66:67] offset1:17
	ds_store_b64 v90, v[60:61] offset:272
	ds_store_2addr_b64 v90, v[38:39], v[52:53] offset0:85 offset1:102
	ds_store_2addr_b64 v90, v[64:65], v[54:55] offset0:170 offset1:187
	ds_store_b64 v73, v[62:63] offset:952
	ds_store_b64 v73, v[56:57] offset:1632
	;; [unrolled: 1-line block ×8, first 2 shown]
	global_wb scope:SCOPE_SE
	s_wait_dscnt 0x0
	s_barrier_signal -1
	s_barrier_wait -1
	global_inv scope:SCOPE_SE
	s_and_saveexec_b32 s2, vcc_lo
	s_cbranch_execz .LBB0_9
; %bb.8:
	s_add_nc_u64 s[0:1], s[12:13], 0x7f8
	s_clause 0x10
	global_load_b64 v[42:43], v84, s[12:13] offset:2040
	global_load_b64 v[115:116], v84, s[0:1] offset:120
	;; [unrolled: 1-line block ×17, first 2 shown]
	ds_load_2addr_b64 v[74:77], v90 offset1:15
	ds_load_2addr_b64 v[78:81], v90 offset0:30 offset1:45
	ds_load_2addr_b64 v[91:94], v90 offset0:60 offset1:75
	;; [unrolled: 1-line block ×7, first 2 shown]
	ds_load_b64 v[147:148], v90 offset:1920
	s_wait_loadcnt_dscnt 0x1008
	v_mul_f32_e32 v149, v75, v43
	s_wait_loadcnt 0xf
	v_dual_mul_f32 v150, v74, v43 :: v_dual_mul_f32 v151, v77, v116
	s_wait_loadcnt_dscnt 0xe07
	v_dual_mul_f32 v43, v76, v116 :: v_dual_mul_f32 v152, v79, v118
	s_wait_loadcnt 0xd
	v_dual_mul_f32 v116, v78, v118 :: v_dual_mul_f32 v153, v81, v120
	s_wait_loadcnt_dscnt 0xc06
	v_mul_f32_e32 v154, v92, v122
	v_dual_mul_f32 v118, v80, v120 :: v_dual_fmac_f32 v43, v77, v115
	s_wait_loadcnt 0xb
	v_dual_mul_f32 v82, v91, v122 :: v_dual_mul_f32 v155, v94, v124
	v_mul_f32_e32 v120, v93, v124
	s_wait_loadcnt_dscnt 0x905
	v_dual_mul_f32 v156, v96, v126 :: v_dual_mul_f32 v157, v98, v128
	s_wait_loadcnt_dscnt 0x704
	v_dual_mul_f32 v122, v95, v126 :: v_dual_mul_f32 v159, v102, v132
	v_mul_f32_e32 v124, v97, v128
	s_wait_loadcnt_dscnt 0x503
	v_dual_mul_f32 v158, v100, v130 :: v_dual_mul_f32 v161, v106, v136
	s_wait_loadcnt_dscnt 0x302
	v_dual_mul_f32 v126, v99, v130 :: v_dual_mul_f32 v163, v110, v140
	v_mul_f32_e32 v128, v101, v132
	s_wait_loadcnt_dscnt 0x101
	v_dual_mul_f32 v160, v104, v134 :: v_dual_mul_f32 v165, v114, v144
	v_mul_f32_e32 v130, v103, v134
	v_mul_f32_e32 v132, v105, v136
	;; [unrolled: 1-line block ×8, first 2 shown]
	s_wait_loadcnt_dscnt 0x0
	v_mul_f32_e32 v144, v148, v146
	v_mul_f32_e32 v142, v147, v146
	v_fma_f32 v149, v74, v42, -v149
	v_fmac_f32_e32 v150, v75, v42
	v_fma_f32 v42, v76, v115, -v151
	v_fma_f32 v115, v78, v117, -v152
	v_fmac_f32_e32 v116, v79, v117
	v_fma_f32 v117, v80, v119, -v153
	v_fmac_f32_e32 v118, v81, v119
	;; [unrolled: 2-line block ×15, first 2 shown]
	ds_store_2addr_b64 v90, v[149:150], v[42:43] offset1:15
	ds_store_2addr_b64 v90, v[115:116], v[117:118] offset0:30 offset1:45
	ds_store_2addr_b64 v90, v[81:82], v[119:120] offset0:60 offset1:75
	ds_store_2addr_b64 v90, v[121:122], v[123:124] offset0:90 offset1:105
	ds_store_2addr_b64 v90, v[125:126], v[127:128] offset0:120 offset1:135
	ds_store_2addr_b64 v90, v[129:130], v[131:132] offset0:150 offset1:165
	ds_store_2addr_b64 v90, v[133:134], v[135:136] offset0:180 offset1:195
	ds_store_2addr_b64 v90, v[137:138], v[139:140] offset0:210 offset1:225
	ds_store_b64 v90, v[141:142] offset:1920
.LBB0_9:
	s_wait_alu 0xfffe
	s_or_b32 exec_lo, exec_lo, s2
	global_wb scope:SCOPE_SE
	s_wait_dscnt 0x0
	s_barrier_signal -1
	s_barrier_wait -1
	global_inv scope:SCOPE_SE
	s_and_saveexec_b32 s0, vcc_lo
	s_cbranch_execz .LBB0_11
; %bb.10:
	ds_load_2addr_b64 v[36:39], v90 offset1:15
	ds_load_2addr_b64 v[64:67], v90 offset0:30 offset1:45
	ds_load_2addr_b64 v[40:43], v90 offset0:210 offset1:225
	;; [unrolled: 1-line block ×7, first 2 shown]
	ds_load_b64 v[69:70], v90 offset:1920
	s_wait_dscnt 0x6
	v_dual_mov_b32 v71, v42 :: v_dual_mov_b32 v72, v43
.LBB0_11:
	s_wait_alu 0xfffe
	s_or_b32 exec_lo, exec_lo, s0
	v_add_nc_u32_e32 v93, 0x110, v73
	v_add_nc_u32_e32 v92, 0x198, v73
	;; [unrolled: 1-line block ×3, first 2 shown]
	global_wb scope:SCOPE_SE
	s_wait_dscnt 0x0
	s_barrier_signal -1
	s_barrier_wait -1
	global_inv scope:SCOPE_SE
	s_and_saveexec_b32 s0, vcc_lo
	s_cbranch_execz .LBB0_13
; %bb.12:
	v_dual_add_f32 v149, v70, v39 :: v_dual_add_f32 v146, v72, v65
	v_dual_sub_f32 v99, v38, v69 :: v_dual_sub_f32 v94, v52, v50
	v_dual_sub_f32 v95, v64, v71 :: v_dual_sub_f32 v96, v66, v40
	s_delay_alu instid0(VALU_DEP_3) | instskip(SKIP_2) | instid1(VALU_DEP_3)
	v_dual_mul_f32 v115, 0xbf7ba420, v149 :: v_dual_add_f32 v142, v49, v55
	v_dual_add_f32 v145, v41, v67 :: v_dual_add_f32 v140, v51, v53
	v_dual_mul_f32 v111, 0x3f6eb680, v146 :: v_dual_add_f32 v102, v71, v64
	v_dual_fmamk_f32 v42, v99, 0x3e3c28d5, v115 :: v_dual_sub_f32 v97, v54, v48
	s_delay_alu instid0(VALU_DEP_3) | instskip(NEXT) | instid1(VALU_DEP_2)
	v_dual_mul_f32 v112, 0xbf59a7d5, v145 :: v_dual_sub_f32 v179, v39, v70
	v_dual_fmamk_f32 v43, v95, 0xbeb8f4ab, v111 :: v_dual_add_f32 v42, v37, v42
	v_mul_f32_e32 v110, 0x3f3d2fb0, v140
	s_delay_alu instid0(VALU_DEP_3) | instskip(SKIP_1) | instid1(VALU_DEP_4)
	v_fmamk_f32 v73, v96, 0x3f06c442, v112
	v_dual_add_f32 v143, v47, v61 :: v_dual_sub_f32 v98, v60, v46
	v_add_f32_e32 v42, v43, v42
	s_delay_alu instid0(VALU_DEP_4) | instskip(SKIP_2) | instid1(VALU_DEP_4)
	v_dual_add_f32 v100, v69, v38 :: v_dual_fmamk_f32 v43, v94, 0xbf2c7751, v110
	v_dual_mul_f32 v113, 0xbf1a4643, v142 :: v_dual_sub_f32 v186, v67, v41
	v_dual_mul_f32 v120, 0xbe3c28d5, v179 :: v_dual_sub_f32 v181, v65, v72
	v_add_f32_e32 v42, v73, v42
	s_delay_alu instid0(VALU_DEP_3) | instskip(SKIP_2) | instid1(VALU_DEP_4)
	v_fmamk_f32 v73, v97, 0x3f4c4adb, v113
	v_dual_mul_f32 v114, 0x3ee437d1, v143 :: v_dual_add_f32 v103, v40, v66
	v_dual_mul_f32 v123, 0xbf06c442, v186 :: v_dual_sub_f32 v196, v61, v47
	v_dual_add_f32 v42, v43, v42 :: v_dual_fmamk_f32 v43, v100, 0xbf7ba420, v120
	v_mul_f32_e32 v121, 0x3eb8f4ab, v181
	v_sub_f32_e32 v189, v53, v51
	v_add_f32_e32 v188, v45, v63
	s_delay_alu instid0(VALU_DEP_4) | instskip(NEXT) | instid1(VALU_DEP_4)
	v_dual_add_f32 v42, v73, v42 :: v_dual_fmamk_f32 v73, v98, 0xbf65296c, v114
	v_dual_add_f32 v43, v36, v43 :: v_dual_fmamk_f32 v74, v102, 0x3f6eb680, v121
	s_delay_alu instid0(VALU_DEP_4) | instskip(NEXT) | instid1(VALU_DEP_3)
	v_dual_add_f32 v105, v50, v52 :: v_dual_mul_f32 v118, 0x3f2c7751, v189
	v_dual_add_f32 v42, v73, v42 :: v_dual_fmamk_f32 v73, v103, 0xbf59a7d5, v123
	s_delay_alu instid0(VALU_DEP_3) | instskip(SKIP_2) | instid1(VALU_DEP_3)
	v_dual_add_f32 v106, v48, v54 :: v_dual_add_f32 v43, v74, v43
	v_dual_mul_f32 v116, 0xbe8c1d8e, v188 :: v_dual_sub_f32 v193, v55, v49
	v_dual_sub_f32 v101, v62, v44 :: v_dual_add_f32 v204, v59, v57
	v_dual_add_f32 v43, v73, v43 :: v_dual_add_f32 v108, v46, v60
	v_dual_fmamk_f32 v73, v105, 0x3f3d2fb0, v118 :: v_dual_sub_f32 v200, v63, v45
	s_delay_alu instid0(VALU_DEP_4) | instskip(NEXT) | instid1(VALU_DEP_2)
	v_dual_mul_f32 v119, 0xbf4c4adb, v193 :: v_dual_sub_f32 v104, v56, v58
	v_dual_mul_f32 v122, 0x3f65296c, v196 :: v_dual_add_f32 v43, v73, v43
	v_mul_f32_e32 v136, 0x3f65296c, v181
	s_delay_alu instid0(VALU_DEP_3) | instskip(SKIP_3) | instid1(VALU_DEP_4)
	v_fmamk_f32 v73, v106, 0xbf1a4643, v119
	v_dual_fmamk_f32 v74, v101, 0x3f763a35, v116 :: v_dual_add_f32 v107, v44, v62
	v_mul_f32_e32 v117, 0x3dbcf732, v204
	v_dual_add_f32 v109, v58, v56 :: v_dual_mul_f32 v134, 0xbf06c442, v179
	v_add_f32_e32 v43, v73, v43
	v_mul_f32_e32 v139, 0xbf59a7d5, v149
	v_fmamk_f32 v77, v102, 0x3ee437d1, v136
	v_dual_fmamk_f32 v73, v108, 0x3ee437d1, v122 :: v_dual_add_f32 v42, v74, v42
	v_fmamk_f32 v74, v104, 0xbf7ee86f, v117
	s_delay_alu instid0(VALU_DEP_4) | instskip(NEXT) | instid1(VALU_DEP_3)
	v_dual_fmamk_f32 v76, v99, 0x3f06c442, v139 :: v_dual_sub_f32 v217, v57, v59
	v_dual_mul_f32 v138, 0x3dbcf732, v145 :: v_dual_add_f32 v73, v73, v43
	v_mul_f32_e32 v125, 0xbf763a35, v200
	s_delay_alu instid0(VALU_DEP_4)
	v_add_f32_e32 v43, v74, v42
	v_mul_f32_e32 v169, 0x3f763a35, v181
	v_mul_f32_e32 v162, 0x3dbcf732, v142
	;; [unrolled: 1-line block ×3, first 2 shown]
	v_fmamk_f32 v75, v107, 0xbe8c1d8e, v125
	v_mul_f32_e32 v182, 0xbf763a35, v179
	v_fmamk_f32 v79, v102, 0xbe8c1d8e, v169
	v_mul_f32_e32 v155, 0xbf1a4643, v149
	v_mul_f32_e32 v130, 0x3f4c4adb, v189
	v_dual_add_f32 v42, v75, v73 :: v_dual_add_f32 v73, v37, v76
	v_mul_f32_e32 v127, 0x3f7ee86f, v217
	v_fmamk_f32 v76, v100, 0xbf59a7d5, v134
	v_mul_f32_e32 v177, 0xbe3c28d5, v193
	v_mul_f32_e32 v151, 0xbf7ba420, v188
	;; [unrolled: 1-line block ×3, first 2 shown]
	s_delay_alu instid0(VALU_DEP_4) | instskip(SKIP_1) | instid1(VALU_DEP_4)
	v_dual_fmamk_f32 v75, v109, 0x3dbcf732, v127 :: v_dual_add_f32 v76, v36, v76
	v_mul_f32_e32 v141, 0x3f6eb680, v145
	v_fmamk_f32 v80, v101, 0x3e3c28d5, v151
	s_delay_alu instid0(VALU_DEP_3) | instskip(NEXT) | instid1(VALU_DEP_4)
	v_dual_mul_f32 v167, 0xbf4c4adb, v179 :: v_dual_add_f32 v42, v75, v42
	v_dual_add_f32 v76, v77, v76 :: v_dual_fmamk_f32 v77, v103, 0x3dbcf732, v129
	v_mul_f32_e32 v153, 0xbf1a4643, v140
	v_mul_f32_e32 v144, 0x3f6eb680, v142
	;; [unrolled: 1-line block ×4, first 2 shown]
	v_add_f32_e32 v76, v77, v76
	v_fmamk_f32 v77, v105, 0xbf1a4643, v130
	v_mul_f32_e32 v132, 0xbf7ba420, v143
	v_fmamk_f32 v78, v107, 0x3f3d2fb0, v128
	v_dual_mul_f32 v135, 0xbe8c1d8e, v204 :: v_dual_mul_f32 v156, 0xbe8c1d8e, v146
	s_delay_alu instid0(VALU_DEP_4) | instskip(SKIP_4) | instid1(VALU_DEP_4)
	v_dual_add_f32 v75, v77, v76 :: v_dual_fmamk_f32 v76, v106, 0x3f6eb680, v124
	v_mul_f32_e32 v137, 0x3ee437d1, v146
	v_fmamk_f32 v77, v99, 0x3f4c4adb, v155
	v_dual_mul_f32 v157, 0xbf59a7d5, v140 :: v_dual_mul_f32 v150, 0xbf59a7d5, v146
	v_mul_f32_e32 v126, 0xbe3c28d5, v196
	v_fmamk_f32 v74, v95, 0xbf65296c, v137
	v_mul_f32_e32 v171, 0xbf06c442, v189
	v_mul_f32_e32 v152, 0x3f3d2fb0, v145
	;; [unrolled: 1-line block ×4, first 2 shown]
	v_dual_add_f32 v73, v74, v73 :: v_dual_fmamk_f32 v74, v96, 0x3f7ee86f, v138
	v_mul_f32_e32 v192, 0xbf1a4643, v188
	v_mul_f32_e32 v163, 0x3ee437d1, v204
	;; [unrolled: 1-line block ×3, first 2 shown]
	v_dual_mul_f32 v147, 0xbe3c28d5, v200 :: v_dual_mul_f32 v202, 0xbe3c28d5, v181
	v_add_f32_e32 v73, v74, v73
	v_fmamk_f32 v74, v94, 0xbf4c4adb, v153
	v_mul_f32_e32 v174, 0xbe8c1d8e, v149
	v_fmamk_f32 v81, v102, 0xbf59a7d5, v184
	v_dual_mul_f32 v173, 0xbf4c4adb, v217 :: v_dual_fmamk_f32 v180, v101, 0xbf4c4adb, v192
	s_delay_alu instid0(VALU_DEP_4) | instskip(SKIP_3) | instid1(VALU_DEP_4)
	v_dual_add_f32 v73, v74, v73 :: v_dual_fmamk_f32 v74, v97, 0x3eb8f4ab, v144
	v_mul_f32_e32 v187, 0x3f2c7751, v186
	v_dual_mul_f32 v159, 0xbf7ba420, v142 :: v_dual_fmamk_f32 v166, v102, 0xbf7ba420, v202
	v_mul_f32_e32 v176, 0xbf65296c, v189
	v_add_f32_e32 v73, v74, v73
	v_fmamk_f32 v74, v98, 0x3e3c28d5, v132
	v_mul_f32_e32 v197, 0x3dbcf732, v149
	v_mul_f32_e32 v212, 0x3ee437d1, v149
	;; [unrolled: 1-line block ×4, first 2 shown]
	v_dual_add_f32 v73, v74, v73 :: v_dual_fmamk_f32 v74, v101, 0xbf2c7751, v133
	s_delay_alu instid0(VALU_DEP_4) | instskip(NEXT) | instid1(VALU_DEP_4)
	v_fmamk_f32 v183, v99, 0x3f65296c, v212
	v_fmamk_f32 v82, v107, 0x3f6eb680, v168
	v_dual_mul_f32 v191, 0xbf65296c, v193 :: v_dual_mul_f32 v218, 0xbf65296c, v179
	s_delay_alu instid0(VALU_DEP_4) | instskip(SKIP_2) | instid1(VALU_DEP_4)
	v_dual_add_f32 v73, v74, v73 :: v_dual_add_f32 v74, v76, v75
	v_fmamk_f32 v76, v104, 0x3f763a35, v135
	v_fmamk_f32 v75, v108, 0xbf7ba420, v126
	;; [unrolled: 1-line block ×3, first 2 shown]
	v_mul_f32_e32 v205, 0x3f763a35, v186
	v_mul_f32_e32 v190, 0x3eb8f4ab, v189
	;; [unrolled: 1-line block ×3, first 2 shown]
	v_dual_add_f32 v75, v75, v74 :: v_dual_add_f32 v74, v76, v73
	v_dual_add_f32 v73, v37, v77 :: v_dual_fmamk_f32 v76, v95, 0xbf763a35, v156
	v_fmamk_f32 v77, v109, 0xbe8c1d8e, v131
	s_delay_alu instid0(VALU_DEP_3) | instskip(SKIP_1) | instid1(VALU_DEP_4)
	v_dual_add_f32 v75, v78, v75 :: v_dual_add_f32 v208, v36, v208
	v_mul_f32_e32 v199, 0xbe8c1d8e, v145
	v_add_f32_e32 v73, v76, v73
	v_fmamk_f32 v76, v96, 0x3eb8f4ab, v141
	v_dual_mul_f32 v219, 0xbf4c4adb, v181 :: v_dual_add_f32 v38, v38, v36
	v_mul_f32_e32 v220, 0xbf7ee86f, v200
	s_delay_alu instid0(VALU_DEP_3) | instskip(SKIP_2) | instid1(VALU_DEP_4)
	v_dual_mul_f32 v224, 0x3dbcf732, v146 :: v_dual_add_f32 v73, v76, v73
	v_fmamk_f32 v76, v94, 0x3f06c442, v157
	v_mul_f32_e32 v170, 0xbeb8f4ab, v186
	v_fmamk_f32 v227, v107, 0x3dbcf732, v220
	s_delay_alu instid0(VALU_DEP_4) | instskip(NEXT) | instid1(VALU_DEP_4)
	v_fmamk_f32 v229, v95, 0x3f7ee86f, v224
	v_dual_fmamk_f32 v210, v102, 0xbf1a4643, v219 :: v_dual_add_f32 v73, v76, v73
	v_fmamk_f32 v76, v97, 0xbf7ee86f, v162
	v_mul_f32_e32 v164, 0x3f3d2fb0, v143
	v_mul_f32_e32 v160, 0x3dbcf732, v143
	s_delay_alu instid0(VALU_DEP_4) | instskip(NEXT) | instid1(VALU_DEP_3)
	v_dual_mul_f32 v207, 0xbf59a7d5, v143 :: v_dual_add_f32 v210, v210, v208
	v_dual_add_f32 v73, v76, v73 :: v_dual_fmamk_f32 v76, v98, 0x3f2c7751, v164
	v_mul_f32_e32 v221, 0x3e3c28d5, v186
	v_dual_mul_f32 v195, 0xbf7ba420, v145 :: v_dual_mul_f32 v198, 0xbf7ba420, v146
	v_mul_f32_e32 v206, 0x3ee437d1, v142
	s_delay_alu instid0(VALU_DEP_4) | instskip(NEXT) | instid1(VALU_DEP_4)
	v_add_f32_e32 v76, v76, v73
	v_dual_fmamk_f32 v214, v103, 0xbf7ba420, v221 :: v_dual_add_f32 v73, v77, v75
	v_mul_f32_e32 v175, 0xbf06c442, v196
	v_mul_f32_e32 v222, 0x3f763a35, v189
	s_delay_alu instid0(VALU_DEP_4) | instskip(SKIP_4) | instid1(VALU_DEP_4)
	v_add_f32_e32 v76, v80, v76
	v_fmamk_f32 v78, v100, 0xbf1a4643, v167
	v_dual_fmamk_f32 v80, v100, 0xbe8c1d8e, v182 :: v_dual_mul_f32 v211, 0xbe8c1d8e, v140
	v_add_f32_e32 v210, v214, v210
	v_fmamk_f32 v214, v105, 0xbe8c1d8e, v222
	v_add_f32_e32 v78, v36, v78
	s_delay_alu instid0(VALU_DEP_4) | instskip(SKIP_2) | instid1(VALU_DEP_4)
	v_dual_add_f32 v80, v36, v80 :: v_dual_mul_f32 v215, 0x3f2c7751, v193
	v_add_f32_e32 v38, v64, v38
	v_mul_f32_e32 v213, 0x3f3d2fb0, v142
	v_add_f32_e32 v78, v79, v78
	s_delay_alu instid0(VALU_DEP_4) | instskip(SKIP_2) | instid1(VALU_DEP_3)
	v_dual_fmamk_f32 v79, v103, 0x3f6eb680, v170 :: v_dual_add_f32 v80, v81, v80
	v_fmamk_f32 v81, v103, 0x3f3d2fb0, v187
	v_mul_f32_e32 v216, 0xbeb8f4ab, v196
	v_dual_mul_f32 v209, 0x3f6eb680, v143 :: v_dual_add_f32 v78, v79, v78
	v_fmamk_f32 v79, v105, 0xbf59a7d5, v171
	s_delay_alu instid0(VALU_DEP_4)
	v_add_f32_e32 v80, v81, v80
	v_fmamk_f32 v81, v105, 0x3ee437d1, v176
	v_mul_f32_e32 v201, 0xbf7ee86f, v179
	v_mul_f32_e32 v223, 0x3f3d2fb0, v149
	v_dual_add_f32 v75, v79, v78 :: v_dual_mul_f32 v172, 0x3f7ee86f, v193
	v_fmamk_f32 v79, v99, 0x3f763a35, v174
	v_mul_f32_e32 v178, 0x3f7ee86f, v196
	v_mul_f32_e32 v148, 0xbf1a4643, v204
	;; [unrolled: 1-line block ×3, first 2 shown]
	v_fmamk_f32 v77, v106, 0x3dbcf732, v172
	v_add_f32_e32 v210, v214, v210
	v_fmamk_f32 v214, v106, 0x3f3d2fb0, v215
	v_mul_f32_e32 v208, 0x3dbcf732, v188
	v_fmamk_f32 v185, v95, 0x3f4c4adb, v194
	v_add_f32_e32 v75, v77, v75
	v_fmamk_f32 v77, v108, 0x3f3d2fb0, v165
	v_dual_fmamk_f32 v78, v104, 0xbf65296c, v163 :: v_dual_add_f32 v39, v39, v37
	v_dual_add_f32 v38, v66, v38 :: v_dual_fmac_f32 v115, 0xbe3c28d5, v99
	s_delay_alu instid0(VALU_DEP_3) | instskip(NEXT) | instid1(VALU_DEP_3)
	v_add_f32_e32 v75, v77, v75
	v_dual_fmamk_f32 v77, v107, 0xbf7ba420, v147 :: v_dual_add_f32 v76, v78, v76
	v_dual_add_f32 v78, v37, v79 :: v_dual_fmamk_f32 v79, v95, 0xbf06c442, v150
	v_add_f32_e32 v39, v65, v39
	s_delay_alu instid0(VALU_DEP_3) | instskip(NEXT) | instid1(VALU_DEP_3)
	v_dual_add_f32 v75, v77, v75 :: v_dual_mul_f32 v154, 0x3f65296c, v217
	v_dual_mul_f32 v158, 0x3ee437d1, v140 :: v_dual_add_f32 v77, v79, v78
	v_fmamk_f32 v78, v96, 0xbf2c7751, v152
	s_delay_alu instid0(VALU_DEP_3) | instskip(SKIP_1) | instid1(VALU_DEP_3)
	v_dual_add_f32 v38, v52, v38 :: v_dual_fmamk_f32 v79, v109, 0x3ee437d1, v154
	v_dual_add_f32 v39, v67, v39 :: v_dual_fmac_f32 v112, 0xbf06c442, v96
	v_add_f32_e32 v77, v78, v77
	s_delay_alu instid0(VALU_DEP_3)
	v_dual_add_f32 v38, v54, v38 :: v_dual_add_f32 v75, v79, v75
	v_add_f32_e32 v79, v81, v80
	v_fmamk_f32 v81, v99, 0x3f7ee86f, v197
	v_fmamk_f32 v78, v94, 0x3f65296c, v158
	v_dual_fmamk_f32 v80, v106, 0xbf7ba420, v177 :: v_dual_add_f32 v39, v53, v39
	v_add_f32_e32 v38, v60, v38
	s_delay_alu instid0(VALU_DEP_3) | instskip(SKIP_2) | instid1(VALU_DEP_4)
	v_dual_fmac_f32 v114, 0x3f65296c, v98 :: v_dual_add_f32 v77, v78, v77
	v_fmamk_f32 v78, v97, 0x3e3c28d5, v159
	v_fmac_f32_e32 v110, 0x3f2c7751, v94
	v_add_f32_e32 v62, v62, v38
	v_fmac_f32_e32 v138, 0xbf7ee86f, v96
	v_fmac_f32_e32 v116, 0xbf763a35, v101
	v_add_f32_e32 v77, v78, v77
	v_fmamk_f32 v78, v98, 0xbf7ee86f, v160
	v_add_f32_e32 v56, v56, v62
	v_mul_f32_e32 v62, 0x3dbcf732, v140
	v_fmac_f32_e32 v144, 0xbeb8f4ab, v97
	s_delay_alu instid0(VALU_DEP_4) | instskip(SKIP_4) | instid1(VALU_DEP_4)
	v_dual_fmac_f32 v132, 0xbe3c28d5, v98 :: v_dual_add_f32 v77, v78, v77
	v_fmamk_f32 v78, v101, 0x3eb8f4ab, v161
	v_fmac_f32_e32 v153, 0x3f4c4adb, v94
	v_fmac_f32_e32 v156, 0x3f763a35, v95
	;; [unrolled: 1-line block ×3, first 2 shown]
	v_dual_fmac_f32 v164, 0xbf2c7751, v98 :: v_dual_add_f32 v77, v78, v77
	v_add_f32_e32 v78, v80, v79
	v_fmamk_f32 v79, v108, 0x3dbcf732, v178
	v_fmac_f32_e32 v152, 0x3f2c7751, v96
	v_fmac_f32_e32 v150, 0x3f06c442, v95
	v_fmac_f32_e32 v158, 0xbf65296c, v94
	v_fmac_f32_e32 v160, 0x3f7ee86f, v98
	v_dual_add_f32 v79, v79, v78 :: v_dual_fmac_f32 v194, 0xbf4c4adb, v95
	s_delay_alu instid0(VALU_DEP_1) | instskip(SKIP_2) | instid1(VALU_DEP_3)
	v_dual_add_f32 v79, v82, v79 :: v_dual_fmamk_f32 v82, v100, 0x3dbcf732, v201
	v_fmamk_f32 v80, v104, 0x3f4c4adb, v148
	v_fmac_f32_e32 v148, 0xbf4c4adb, v104
	v_add_f32_e32 v82, v36, v82
	s_delay_alu instid0(VALU_DEP_3) | instskip(SKIP_1) | instid1(VALU_DEP_3)
	v_add_f32_e32 v78, v80, v77
	v_add_f32_e32 v77, v37, v81
	v_dual_fmamk_f32 v81, v109, 0xbf1a4643, v173 :: v_dual_add_f32 v82, v166, v82
	v_fmamk_f32 v166, v103, 0xbe8c1d8e, v205
	s_delay_alu instid0(VALU_DEP_1) | instskip(SKIP_2) | instid1(VALU_DEP_1)
	v_add_f32_e32 v82, v166, v82
	v_fmamk_f32 v166, v105, 0x3f6eb680, v190
	v_fmamk_f32 v80, v95, 0x3e3c28d5, v198
	v_dual_fmac_f32 v198, 0xbe3c28d5, v95 :: v_dual_add_f32 v77, v80, v77
	v_fmamk_f32 v80, v96, 0xbf763a35, v199
	s_delay_alu instid0(VALU_DEP_1) | instskip(SKIP_1) | instid1(VALU_DEP_2)
	v_dual_add_f32 v77, v80, v77 :: v_dual_fmamk_f32 v80, v94, 0xbeb8f4ab, v203
	v_fmac_f32_e32 v203, 0x3eb8f4ab, v94
	v_dual_add_f32 v77, v80, v77 :: v_dual_fmamk_f32 v80, v97, 0x3f65296c, v206
	v_fmac_f32_e32 v206, 0xbf65296c, v97
	s_delay_alu instid0(VALU_DEP_2) | instskip(NEXT) | instid1(VALU_DEP_1)
	v_dual_add_f32 v77, v80, v77 :: v_dual_fmamk_f32 v80, v98, 0x3f06c442, v207
	v_dual_add_f32 v80, v80, v77 :: v_dual_add_f32 v77, v81, v79
	v_dual_add_f32 v79, v166, v82 :: v_dual_mul_f32 v166, 0x3f3d2fb0, v204
	s_delay_alu instid0(VALU_DEP_2) | instskip(NEXT) | instid1(VALU_DEP_1)
	v_dual_fmamk_f32 v81, v106, 0x3ee437d1, v191 :: v_dual_add_f32 v80, v180, v80
	v_dual_mul_f32 v180, 0x3f4c4adb, v200 :: v_dual_add_f32 v79, v81, v79
	v_fmamk_f32 v81, v108, 0xbf59a7d5, v175
	s_delay_alu instid0(VALU_DEP_1) | instskip(NEXT) | instid1(VALU_DEP_3)
	v_add_f32_e32 v79, v81, v79
	v_fmamk_f32 v81, v107, 0xbf1a4643, v180
	s_delay_alu instid0(VALU_DEP_1) | instskip(SKIP_3) | instid1(VALU_DEP_3)
	v_dual_fmac_f32 v192, 0x3f4c4adb, v101 :: v_dual_add_f32 v79, v81, v79
	v_fmamk_f32 v82, v104, 0xbf2c7751, v166
	v_fmac_f32_e32 v212, 0xbf65296c, v99
	v_fmac_f32_e32 v166, 0x3f2c7751, v104
	v_add_f32_e32 v80, v82, v80
	v_dual_add_f32 v82, v37, v183 :: v_dual_mul_f32 v183, 0x3f2c7751, v217
	s_delay_alu instid0(VALU_DEP_1) | instskip(NEXT) | instid1(VALU_DEP_1)
	v_dual_add_f32 v81, v185, v82 :: v_dual_fmamk_f32 v82, v96, 0xbe3c28d5, v195
	v_add_f32_e32 v81, v82, v81
	v_fmamk_f32 v82, v94, 0xbf763a35, v211
	s_delay_alu instid0(VALU_DEP_1) | instskip(NEXT) | instid1(VALU_DEP_1)
	v_dual_add_f32 v81, v82, v81 :: v_dual_fmamk_f32 v82, v97, 0xbf2c7751, v213
	v_add_f32_e32 v81, v82, v81
	v_fmamk_f32 v82, v98, 0x3eb8f4ab, v209
	s_delay_alu instid0(VALU_DEP_1) | instskip(SKIP_1) | instid1(VALU_DEP_2)
	v_dual_add_f32 v81, v82, v81 :: v_dual_fmamk_f32 v82, v101, 0x3f7ee86f, v208
	v_fmac_f32_e32 v208, 0xbf7ee86f, v101
	v_add_f32_e32 v81, v82, v81
	v_add_f32_e32 v82, v214, v210
	v_fmamk_f32 v210, v108, 0x3f6eb680, v216
	v_fmamk_f32 v214, v99, 0x3f2c7751, v223
	s_delay_alu instid0(VALU_DEP_2) | instskip(NEXT) | instid1(VALU_DEP_2)
	v_dual_fmamk_f32 v185, v109, 0x3f3d2fb0, v183 :: v_dual_add_f32 v226, v210, v82
	v_add_f32_e32 v228, v37, v214
	s_delay_alu instid0(VALU_DEP_2) | instskip(SKIP_3) | instid1(VALU_DEP_3)
	v_add_f32_e32 v79, v185, v79
	v_mul_f32_e32 v185, 0xbf59a7d5, v204
	v_mul_f32_e32 v214, 0xbf1a4643, v145
	;; [unrolled: 1-line block ×3, first 2 shown]
	v_fmamk_f32 v225, v104, 0x3f06c442, v185
	s_delay_alu instid0(VALU_DEP_1) | instskip(NEXT) | instid1(VALU_DEP_4)
	v_dual_add_f32 v82, v225, v81 :: v_dual_add_f32 v81, v227, v226
	v_dual_add_f32 v227, v229, v228 :: v_dual_fmamk_f32 v228, v96, 0x3f4c4adb, v214
	s_delay_alu instid0(VALU_DEP_1) | instskip(SKIP_1) | instid1(VALU_DEP_1)
	v_add_f32_e32 v229, v228, v227
	v_fmamk_f32 v225, v109, 0xbf59a7d5, v210
	v_add_f32_e32 v81, v225, v81
	v_mul_f32_e32 v225, 0xbf7ba420, v140
	s_delay_alu instid0(VALU_DEP_1) | instskip(NEXT) | instid1(VALU_DEP_1)
	v_fmamk_f32 v64, v94, 0x3e3c28d5, v225
	v_dual_add_f32 v66, v64, v229 :: v_dual_mul_f32 v229, 0xbf59a7d5, v142
	s_delay_alu instid0(VALU_DEP_1) | instskip(SKIP_1) | instid1(VALU_DEP_2)
	v_fmamk_f32 v53, v97, 0xbf06c442, v229
	v_add_f32_e32 v39, v55, v39
	v_dual_mul_f32 v55, 0x3f06c442, v193 :: v_dual_add_f32 v66, v53, v66
	s_delay_alu instid0(VALU_DEP_2) | instskip(NEXT) | instid1(VALU_DEP_2)
	v_add_f32_e32 v39, v61, v39
	v_fmamk_f32 v53, v106, 0xbf59a7d5, v55
	v_mul_f32_e32 v226, 0xbf2c7751, v179
	v_mul_f32_e32 v54, 0x3f763a35, v196
	s_delay_alu instid0(VALU_DEP_2) | instskip(NEXT) | instid1(VALU_DEP_1)
	v_fmamk_f32 v228, v100, 0x3f3d2fb0, v226
	v_dual_add_f32 v65, v36, v228 :: v_dual_mul_f32 v228, 0xbf4c4adb, v186
	v_fmac_f32_e32 v214, 0xbf4c4adb, v96
	v_fmac_f32_e32 v224, 0xbf7ee86f, v95
	s_delay_alu instid0(VALU_DEP_3) | instskip(SKIP_1) | instid1(VALU_DEP_1)
	v_fmamk_f32 v67, v103, 0xbf1a4643, v228
	v_mul_f32_e32 v227, 0xbf7ee86f, v181
	v_fmamk_f32 v230, v102, 0x3dbcf732, v227
	s_delay_alu instid0(VALU_DEP_1) | instskip(SKIP_2) | instid1(VALU_DEP_3)
	v_add_f32_e32 v64, v230, v65
	v_dual_mul_f32 v65, 0xbe3c28d5, v189 :: v_dual_add_f32 v230, v63, v39
	v_fmamk_f32 v39, v108, 0xbe8c1d8e, v54
	v_dual_mul_f32 v63, 0x3f6eb680, v149 :: v_dual_add_f32 v52, v67, v64
	s_delay_alu instid0(VALU_DEP_3) | instskip(NEXT) | instid1(VALU_DEP_4)
	v_fmamk_f32 v67, v105, 0xbf7ba420, v65
	v_dual_mul_f32 v64, 0xbe8c1d8e, v143 :: v_dual_add_f32 v57, v57, v230
	v_fma_f32 v65, 0xbf7ba420, v105, -v65
	s_delay_alu instid0(VALU_DEP_2) | instskip(SKIP_2) | instid1(VALU_DEP_3)
	v_dual_add_f32 v52, v67, v52 :: v_dual_fmamk_f32 v67, v98, 0xbf763a35, v64
	v_fmac_f32_e32 v64, 0x3f763a35, v98
	v_fmac_f32_e32 v225, 0xbe3c28d5, v94
	v_add_f32_e32 v61, v53, v52
	s_delay_alu instid0(VALU_DEP_4) | instskip(SKIP_2) | instid1(VALU_DEP_4)
	v_dual_add_f32 v67, v67, v66 :: v_dual_mul_f32 v60, 0x3ee437d1, v188
	v_mul_f32_e32 v52, 0x3f6eb680, v204
	v_fmamk_f32 v231, v99, 0x3eb8f4ab, v63
	v_dual_mul_f32 v66, 0x3f3d2fb0, v146 :: v_dual_add_f32 v39, v39, v61
	s_delay_alu instid0(VALU_DEP_4) | instskip(SKIP_1) | instid1(VALU_DEP_3)
	v_fmamk_f32 v149, v101, 0xbf65296c, v60
	v_mul_f32_e32 v61, 0x3eb8f4ab, v217
	v_dual_add_f32 v231, v37, v231 :: v_dual_fmamk_f32 v232, v95, 0x3f2c7751, v66
	v_fma_f32 v54, 0xbe8c1d8e, v108, -v54
	s_delay_alu instid0(VALU_DEP_4)
	v_add_f32_e32 v149, v149, v67
	v_mul_f32_e32 v67, 0x3ee437d1, v145
	v_mul_f32_e32 v53, 0x3f65296c, v200
	v_fmamk_f32 v145, v104, 0xbeb8f4ab, v52
	v_add_f32_e32 v231, v232, v231
	v_fmac_f32_e32 v66, 0xbf2c7751, v95
	v_fmamk_f32 v232, v96, 0x3f65296c, v67
	v_fmamk_f32 v146, v107, 0x3ee437d1, v53
	v_fma_f32 v53, 0x3ee437d1, v107, -v53
	v_fmac_f32_e32 v60, 0x3f65296c, v101
	v_fmac_f32_e32 v52, 0x3eb8f4ab, v104
	s_delay_alu instid0(VALU_DEP_4) | instskip(SKIP_4) | instid1(VALU_DEP_4)
	v_dual_add_f32 v146, v146, v39 :: v_dual_add_f32 v39, v145, v149
	v_mul_f32_e32 v145, 0xbeb8f4ab, v179
	v_mul_f32_e32 v149, 0xbf2c7751, v181
	v_add_f32_e32 v179, v59, v57
	v_dual_add_f32 v181, v58, v56 :: v_dual_mul_f32 v58, 0xbe8c1d8e, v142
	v_fmamk_f32 v140, v100, 0x3f6eb680, v145
	v_fmamk_f32 v56, v94, 0x3f7ee86f, v62
	v_mul_f32_e32 v142, 0xbf65296c, v186
	v_mul_f32_e32 v59, 0xbf1a4643, v143
	s_delay_alu instid0(VALU_DEP_4) | instskip(SKIP_3) | instid1(VALU_DEP_3)
	v_dual_mul_f32 v186, 0xbf7ee86f, v189 :: v_dual_add_f32 v57, v36, v140
	v_dual_fmamk_f32 v140, v102, 0x3f3d2fb0, v149 :: v_dual_add_f32 v45, v45, v179
	v_fmamk_f32 v233, v109, 0x3f6eb680, v61
	v_dual_fmamk_f32 v143, v103, 0x3ee437d1, v142 :: v_dual_add_f32 v44, v44, v181
	v_dual_add_f32 v140, v140, v57 :: v_dual_mul_f32 v57, 0xbf59a7d5, v188
	v_mul_f32_e32 v188, 0xbf763a35, v193
	s_delay_alu instid0(VALU_DEP_4) | instskip(SKIP_1) | instid1(VALU_DEP_4)
	v_add_f32_e32 v38, v233, v146
	v_add_f32_e32 v146, v232, v231
	v_dual_add_f32 v140, v143, v140 :: v_dual_fmamk_f32 v143, v105, 0x3dbcf732, v186
	v_add_f32_e32 v44, v46, v44
	s_delay_alu instid0(VALU_DEP_3) | instskip(SKIP_1) | instid1(VALU_DEP_4)
	v_dual_mul_f32 v179, 0xbf4c4adb, v196 :: v_dual_add_f32 v56, v56, v146
	v_dual_fmamk_f32 v146, v97, 0x3f763a35, v58 :: v_dual_add_f32 v47, v47, v45
	v_dual_add_f32 v140, v143, v140 :: v_dual_fmamk_f32 v143, v106, 0xbe8c1d8e, v188
	v_mul_f32_e32 v181, 0xbf06c442, v200
	s_delay_alu instid0(VALU_DEP_3) | instskip(SKIP_1) | instid1(VALU_DEP_4)
	v_dual_add_f32 v56, v146, v56 :: v_dual_add_f32 v47, v49, v47
	v_add_f32_e32 v44, v48, v44
	v_dual_add_f32 v140, v143, v140 :: v_dual_fmamk_f32 v143, v108, 0xbf1a4643, v179
	v_fmamk_f32 v146, v98, 0x3f4c4adb, v59
	v_fmamk_f32 v49, v107, 0xbf59a7d5, v181
	v_add_f32_e32 v47, v51, v47
	v_fma_f32 v51, 0x3ee437d1, v102, -v136
	v_add_f32_e32 v46, v143, v140
	v_mul_f32_e32 v140, 0xbe3c28d5, v217
	v_add_f32_e32 v146, v146, v56
	v_dual_mul_f32 v56, 0xbf7ba420, v204 :: v_dual_add_f32 v41, v41, v47
	s_delay_alu instid0(VALU_DEP_4) | instskip(SKIP_2) | instid1(VALU_DEP_4)
	v_add_f32_e32 v46, v49, v46
	v_fmamk_f32 v189, v101, 0x3f06c442, v57
	v_dual_add_f32 v47, v50, v44 :: v_dual_fmamk_f32 v48, v109, 0xbf7ba420, v140
	v_add_f32_e32 v41, v72, v41
	v_add_f32_e32 v49, v37, v115
	s_delay_alu instid0(VALU_DEP_4) | instskip(NEXT) | instid1(VALU_DEP_4)
	v_add_f32_e32 v146, v189, v146
	v_add_f32_e32 v40, v40, v47
	;; [unrolled: 1-line block ×3, first 2 shown]
	v_fma_f32 v46, 0xbf7ba420, v100, -v120
	v_fma_f32 v48, 0x3f6eb680, v102, -v121
	s_delay_alu instid0(VALU_DEP_4) | instskip(NEXT) | instid1(VALU_DEP_3)
	v_dual_fmamk_f32 v189, v104, 0x3e3c28d5, v56 :: v_dual_add_f32 v40, v71, v40
	v_dual_add_f32 v41, v70, v41 :: v_dual_add_f32 v46, v36, v46
	v_fma_f32 v50, 0xbf59a7d5, v100, -v134
	v_fma_f32 v70, 0xbe8c1d8e, v102, -v169
	s_delay_alu instid0(VALU_DEP_4)
	v_add_f32_e32 v40, v69, v40
	v_fma_f32 v69, 0xbf1a4643, v105, -v130
	v_add_f32_e32 v46, v48, v46
	v_fma_f32 v48, 0xbf59a7d5, v103, -v123
	v_dual_fmac_f32 v111, 0x3eb8f4ab, v95 :: v_dual_add_f32 v50, v36, v50
	v_fmac_f32_e32 v133, 0x3f2c7751, v101
	v_fma_f32 v72, 0xbf59a7d5, v102, -v184
	s_delay_alu instid0(VALU_DEP_4)
	v_add_f32_e32 v46, v48, v46
	v_fma_f32 v48, 0x3f3d2fb0, v105, -v118
	v_fmac_f32_e32 v139, 0xbf06c442, v99
	v_add_f32_e32 v47, v111, v49
	v_fmac_f32_e32 v151, 0xbe3c28d5, v101
	v_fmac_f32_e32 v157, 0xbf06c442, v94
	v_add_f32_e32 v46, v48, v46
	v_fma_f32 v48, 0xbf1a4643, v106, -v119
	v_fmac_f32_e32 v113, 0xbf4c4adb, v97
	v_add_f32_e32 v47, v112, v47
	v_fma_f32 v71, 0x3dbcf732, v106, -v172
	v_fma_f32 v112, 0xbf7ba420, v102, -v202
	v_add_f32_e32 v46, v48, v46
	v_fma_f32 v48, 0x3ee437d1, v108, -v122
	v_add_f32_e32 v49, v37, v139
	v_add_f32_e32 v47, v110, v47
	v_fma_f32 v110, 0x3f3d2fb0, v103, -v187
	v_fma_f32 v111, 0x3f6eb680, v107, -v168
	v_add_f32_e32 v46, v48, v46
	v_fma_f32 v48, 0xbe8c1d8e, v107, -v125
	v_fmac_f32_e32 v137, 0x3f65296c, v95
	v_add_f32_e32 v47, v113, v47
	v_fma_f32 v113, 0xbf1a4643, v102, -v219
	v_fma_f32 v115, 0xbf59a7d5, v109, -v210
	s_delay_alu instid0(VALU_DEP_4) | instskip(SKIP_4) | instid1(VALU_DEP_4)
	v_dual_add_f32 v46, v48, v46 :: v_dual_add_f32 v49, v137, v49
	v_fma_f32 v48, 0x3dbcf732, v109, -v127
	v_add_f32_e32 v47, v114, v47
	v_fma_f32 v114, 0xbf1a4643, v107, -v180
	v_fma_f32 v55, 0xbf59a7d5, v106, -v55
	v_dual_add_f32 v49, v138, v49 :: v_dual_add_f32 v46, v48, v46
	v_fmac_f32_e32 v62, 0xbf7ee86f, v94
	v_dual_fmac_f32 v58, 0xbf763a35, v97 :: v_dual_add_f32 v45, v189, v146
	s_delay_alu instid0(VALU_DEP_3) | instskip(NEXT) | instid1(VALU_DEP_1)
	v_dual_add_f32 v49, v153, v49 :: v_dual_fmac_f32 v56, 0xbe3c28d5, v104
	v_add_f32_e32 v49, v144, v49
	s_delay_alu instid0(VALU_DEP_1) | instskip(SKIP_2) | instid1(VALU_DEP_3)
	v_dual_add_f32 v48, v132, v49 :: v_dual_add_f32 v49, v51, v50
	v_fma_f32 v50, 0x3dbcf732, v103, -v129
	v_fmac_f32_e32 v117, 0x3f7ee86f, v104
	v_dual_add_f32 v47, v116, v47 :: v_dual_add_f32 v48, v133, v48
	s_delay_alu instid0(VALU_DEP_3) | instskip(NEXT) | instid1(VALU_DEP_1)
	v_add_f32_e32 v50, v50, v49
	v_add_f32_e32 v50, v69, v50
	v_fma_f32 v69, 0x3f6eb680, v106, -v124
	s_delay_alu instid0(VALU_DEP_1) | instskip(SKIP_2) | instid1(VALU_DEP_3)
	v_dual_fmac_f32 v155, 0xbf4c4adb, v99 :: v_dual_add_f32 v50, v69, v50
	v_fma_f32 v69, 0xbf7ba420, v108, -v126
	v_fmac_f32_e32 v135, 0xbf763a35, v104
	v_add_f32_e32 v51, v37, v155
	s_delay_alu instid0(VALU_DEP_3) | instskip(SKIP_1) | instid1(VALU_DEP_1)
	v_add_f32_e32 v50, v69, v50
	v_fma_f32 v69, 0x3f3d2fb0, v107, -v128
	v_dual_fmac_f32 v141, 0xbeb8f4ab, v96 :: v_dual_add_f32 v50, v69, v50
	v_fma_f32 v69, 0xbe8c1d8e, v109, -v131
	v_add_f32_e32 v49, v135, v48
	v_fma_f32 v48, 0xbf1a4643, v100, -v167
	s_delay_alu instid0(VALU_DEP_1) | instskip(NEXT) | instid1(VALU_DEP_1)
	v_dual_add_f32 v47, v117, v47 :: v_dual_add_f32 v48, v36, v48
	v_add_f32_e32 v48, v70, v48
	v_fma_f32 v70, 0x3f6eb680, v103, -v170
	s_delay_alu instid0(VALU_DEP_1) | instskip(SKIP_1) | instid1(VALU_DEP_1)
	v_dual_add_f32 v51, v156, v51 :: v_dual_add_f32 v48, v70, v48
	v_fma_f32 v70, 0xbf59a7d5, v105, -v171
	v_dual_add_f32 v51, v141, v51 :: v_dual_add_f32 v70, v70, v48
	s_delay_alu instid0(VALU_DEP_1) | instskip(SKIP_1) | instid1(VALU_DEP_3)
	v_add_f32_e32 v51, v157, v51
	v_add_f32_e32 v48, v69, v50
	v_dual_fmac_f32 v174, 0xbf763a35, v99 :: v_dual_add_f32 v69, v71, v70
	s_delay_alu instid0(VALU_DEP_3) | instskip(SKIP_1) | instid1(VALU_DEP_3)
	v_add_f32_e32 v51, v162, v51
	v_fma_f32 v70, 0x3f3d2fb0, v108, -v165
	v_add_f32_e32 v71, v37, v174
	s_delay_alu instid0(VALU_DEP_3) | instskip(NEXT) | instid1(VALU_DEP_3)
	v_add_f32_e32 v51, v164, v51
	v_add_f32_e32 v69, v70, v69
	v_fma_f32 v70, 0xbf7ba420, v107, -v147
	s_delay_alu instid0(VALU_DEP_1) | instskip(SKIP_2) | instid1(VALU_DEP_1)
	v_dual_add_f32 v50, v151, v51 :: v_dual_add_f32 v69, v70, v69
	v_fma_f32 v70, 0x3ee437d1, v109, -v154
	v_fmac_f32_e32 v163, 0x3f65296c, v104
	v_add_f32_e32 v51, v163, v50
	v_fma_f32 v50, 0xbe8c1d8e, v100, -v182
	s_delay_alu instid0(VALU_DEP_1) | instskip(NEXT) | instid1(VALU_DEP_1)
	v_add_f32_e32 v50, v36, v50
	v_add_f32_e32 v72, v72, v50
	;; [unrolled: 1-line block ×3, first 2 shown]
	s_delay_alu instid0(VALU_DEP_2) | instskip(SKIP_2) | instid1(VALU_DEP_3)
	v_dual_add_f32 v70, v110, v72 :: v_dual_fmac_f32 v197, 0xbf7ee86f, v99
	v_add_f32_e32 v71, v150, v71
	v_fma_f32 v110, 0x3dbcf732, v100, -v201
	v_dual_fmac_f32 v199, 0x3f763a35, v96 :: v_dual_add_f32 v72, v37, v197
	s_delay_alu instid0(VALU_DEP_3) | instskip(NEXT) | instid1(VALU_DEP_3)
	v_add_f32_e32 v71, v152, v71
	v_dual_add_f32 v110, v36, v110 :: v_dual_fmac_f32 v161, 0xbeb8f4ab, v101
	s_delay_alu instid0(VALU_DEP_3) | instskip(NEXT) | instid1(VALU_DEP_3)
	v_add_f32_e32 v72, v198, v72
	v_add_f32_e32 v69, v158, v71
	v_fma_f32 v71, 0x3ee437d1, v105, -v176
	s_delay_alu instid0(VALU_DEP_3) | instskip(NEXT) | instid1(VALU_DEP_2)
	v_dual_fmac_f32 v159, 0xbe3c28d5, v97 :: v_dual_add_f32 v72, v199, v72
	v_add_f32_e32 v70, v71, v70
	v_fma_f32 v71, 0xbf7ba420, v106, -v177
	s_delay_alu instid0(VALU_DEP_3) | instskip(NEXT) | instid1(VALU_DEP_2)
	v_add_f32_e32 v72, v203, v72
	v_add_f32_e32 v70, v71, v70
	;; [unrolled: 1-line block ×3, first 2 shown]
	v_fma_f32 v71, 0x3dbcf732, v108, -v178
	s_delay_alu instid0(VALU_DEP_2) | instskip(NEXT) | instid1(VALU_DEP_2)
	v_add_f32_e32 v69, v160, v69
	v_add_f32_e32 v71, v71, v70
	s_delay_alu instid0(VALU_DEP_2) | instskip(NEXT) | instid1(VALU_DEP_1)
	v_add_f32_e32 v69, v161, v69
	v_dual_add_f32 v70, v148, v69 :: v_dual_add_f32 v69, v206, v72
	v_add_f32_e32 v72, v112, v110
	v_fma_f32 v110, 0xbe8c1d8e, v103, -v205
	s_delay_alu instid0(VALU_DEP_1) | instskip(NEXT) | instid1(VALU_DEP_1)
	v_dual_fmac_f32 v207, 0xbf06c442, v98 :: v_dual_add_f32 v72, v110, v72
	v_add_f32_e32 v112, v207, v69
	v_fma_f32 v110, 0x3f6eb680, v105, -v190
	v_add_f32_e32 v71, v111, v71
	v_fma_f32 v111, 0xbf1a4643, v109, -v173
	s_delay_alu instid0(VALU_DEP_3) | instskip(SKIP_1) | instid1(VALU_DEP_3)
	v_add_f32_e32 v72, v110, v72
	v_fma_f32 v110, 0x3ee437d1, v106, -v191
	v_add_f32_e32 v69, v111, v71
	v_add_f32_e32 v111, v37, v212
	;; [unrolled: 1-line block ×3, first 2 shown]
	v_fma_f32 v112, 0x3ee437d1, v100, -v218
	v_fmac_f32_e32 v195, 0x3e3c28d5, v96
	s_delay_alu instid0(VALU_DEP_2) | instskip(SKIP_2) | instid1(VALU_DEP_1)
	v_dual_add_f32 v111, v194, v111 :: v_dual_add_f32 v112, v36, v112
	v_add_f32_e32 v72, v110, v72
	v_fma_f32 v110, 0xbf59a7d5, v108, -v175
	v_dual_fmac_f32 v211, 0x3f763a35, v94 :: v_dual_add_f32 v110, v110, v72
	v_add_f32_e32 v72, v166, v71
	v_dual_add_f32 v111, v195, v111 :: v_dual_add_f32 v112, v113, v112
	v_fma_f32 v113, 0xbf7ba420, v103, -v221
	s_delay_alu instid0(VALU_DEP_4) | instskip(NEXT) | instid1(VALU_DEP_3)
	v_add_f32_e32 v71, v114, v110
	v_add_f32_e32 v111, v211, v111
	s_delay_alu instid0(VALU_DEP_3) | instskip(SKIP_2) | instid1(VALU_DEP_2)
	v_dual_fmac_f32 v213, 0x3f2c7751, v97 :: v_dual_add_f32 v110, v113, v112
	v_fma_f32 v112, 0xbe8c1d8e, v105, -v222
	v_fma_f32 v113, 0x3f3d2fb0, v109, -v183
	v_dual_add_f32 v111, v213, v111 :: v_dual_add_f32 v110, v112, v110
	v_fma_f32 v112, 0x3f3d2fb0, v106, -v215
	s_delay_alu instid0(VALU_DEP_1) | instskip(NEXT) | instid1(VALU_DEP_1)
	v_dual_fmac_f32 v223, 0xbf2c7751, v99 :: v_dual_add_f32 v110, v112, v110
	v_dual_fmac_f32 v209, 0xbeb8f4ab, v98 :: v_dual_add_f32 v114, v37, v223
	v_fma_f32 v112, 0x3f6eb680, v108, -v216
	v_add_f32_e32 v71, v113, v71
	s_delay_alu instid0(VALU_DEP_3) | instskip(NEXT) | instid1(VALU_DEP_4)
	v_add_f32_e32 v111, v209, v111
	v_add_f32_e32 v113, v224, v114
	s_delay_alu instid0(VALU_DEP_4)
	v_add_f32_e32 v110, v112, v110
	v_fma_f32 v112, 0x3dbcf732, v107, -v220
	v_fma_f32 v114, 0x3f3d2fb0, v100, -v226
	v_fmac_f32_e32 v185, 0xbf06c442, v104
	v_add_f32_e32 v113, v214, v113
	v_fma_f32 v100, 0x3f6eb680, v100, -v145
	v_add_f32_e32 v110, v112, v110
	v_add_f32_e32 v112, v36, v114
	v_fma_f32 v114, 0x3dbcf732, v102, -v227
	v_add_f32_e32 v113, v225, v113
	v_add_f32_e32 v111, v208, v111
	v_dual_fmac_f32 v229, 0x3f06c442, v97 :: v_dual_add_f32 v110, v115, v110
	s_delay_alu instid0(VALU_DEP_4) | instskip(SKIP_1) | instid1(VALU_DEP_4)
	v_add_f32_e32 v112, v114, v112
	v_fma_f32 v114, 0xbf1a4643, v103, -v228
	v_dual_add_f32 v111, v185, v111 :: v_dual_add_f32 v36, v36, v100
	s_delay_alu instid0(VALU_DEP_4) | instskip(SKIP_1) | instid1(VALU_DEP_2)
	v_add_f32_e32 v113, v229, v113
	v_fmac_f32_e32 v63, 0xbeb8f4ab, v99
	v_dual_add_f32 v99, v114, v112 :: v_dual_add_f32 v64, v64, v113
	s_delay_alu instid0(VALU_DEP_2) | instskip(NEXT) | instid1(VALU_DEP_2)
	v_add_f32_e32 v37, v37, v63
	v_add_f32_e32 v63, v65, v99
	v_fma_f32 v65, 0x3f3d2fb0, v102, -v149
	s_delay_alu instid0(VALU_DEP_2) | instskip(SKIP_1) | instid1(VALU_DEP_3)
	v_dual_add_f32 v60, v60, v64 :: v_dual_add_f32 v55, v55, v63
	v_fmac_f32_e32 v67, 0xbf65296c, v96
	v_add_f32_e32 v36, v65, v36
	v_fma_f32 v65, 0x3ee437d1, v103, -v142
	v_add_f32_e32 v37, v66, v37
	v_fma_f32 v63, 0x3dbcf732, v105, -v186
	;; [unrolled: 2-line block ×3, first 2 shown]
	s_delay_alu instid0(VALU_DEP_4) | instskip(NEXT) | instid1(VALU_DEP_3)
	v_dual_add_f32 v36, v65, v36 :: v_dual_add_f32 v37, v67, v37
	v_add_f32_e32 v53, v53, v54
	v_mul_lo_u16 v54, v86, 17
	s_delay_alu instid0(VALU_DEP_3) | instskip(NEXT) | instid1(VALU_DEP_2)
	v_dual_add_f32 v36, v63, v36 :: v_dual_add_f32 v37, v62, v37
	v_and_b32_e32 v54, 0xffff, v54
	s_delay_alu instid0(VALU_DEP_2) | instskip(SKIP_4) | instid1(VALU_DEP_4)
	v_dual_add_f32 v36, v55, v36 :: v_dual_add_f32 v37, v58, v37
	v_fma_f32 v55, 0xbf1a4643, v108, -v179
	v_fmac_f32_e32 v59, 0xbf4c4adb, v98
	v_fma_f32 v58, 0x3f6eb680, v109, -v61
	v_lshl_add_u32 v54, v54, 3, v87
	v_add_f32_e32 v36, v55, v36
	v_fma_f32 v55, 0xbf59a7d5, v107, -v181
	v_add_f32_e32 v37, v59, v37
	v_fma_f32 v59, 0xbf7ba420, v109, -v140
	s_delay_alu instid0(VALU_DEP_3) | instskip(SKIP_1) | instid1(VALU_DEP_1)
	v_dual_add_f32 v55, v55, v36 :: v_dual_add_f32 v36, v58, v53
	v_fmac_f32_e32 v57, 0xbf06c442, v101
	v_add_f32_e32 v57, v57, v37
	s_delay_alu instid0(VALU_DEP_3) | instskip(NEXT) | instid1(VALU_DEP_2)
	v_dual_add_f32 v37, v52, v60 :: v_dual_add_f32 v52, v59, v55
	v_add_f32_e32 v53, v56, v57
	ds_store_2addr_b64 v54, v[40:41], v[44:45] offset1:1
	ds_store_2addr_b64 v54, v[38:39], v[81:82] offset0:2 offset1:3
	ds_store_2addr_b64 v54, v[79:80], v[77:78] offset0:4 offset1:5
	;; [unrolled: 1-line block ×7, first 2 shown]
	ds_store_b64 v54, v[52:53] offset:128
.LBB0_13:
	s_wait_alu 0xfffe
	s_or_b32 exec_lo, exec_lo, s0
	global_wb scope:SCOPE_SE
	s_wait_dscnt 0x0
	s_barrier_signal -1
	s_barrier_wait -1
	global_inv scope:SCOPE_SE
	ds_load_2addr_b64 v[36:39], v88 offset0:34 offset1:51
	ds_load_2addr_b64 v[40:43], v88 offset0:102 offset1:119
	;; [unrolled: 1-line block ×5, first 2 shown]
	ds_load_2addr_b64 v[56:59], v88 offset1:17
	ds_load_2addr_b64 v[60:63], v88 offset0:170 offset1:187
	ds_load_b64 v[64:65], v88 offset:1904
	global_wb scope:SCOPE_SE
	s_wait_dscnt 0x0
	s_barrier_signal -1
	s_barrier_wait -1
	global_inv scope:SCOPE_SE
	v_dual_mul_f32 v66, v9, v39 :: v_dual_mul_f32 v69, v11, v41
	v_dual_mul_f32 v67, v9, v38 :: v_dual_mul_f32 v70, v11, v40
	v_dual_mul_f32 v71, v1, v47 :: v_dual_mul_f32 v74, v3, v48
	v_dual_mul_f32 v72, v1, v46 :: v_dual_mul_f32 v73, v3, v49
	s_delay_alu instid0(VALU_DEP_4)
	v_dual_mul_f32 v75, v9, v53 :: v_dual_fmac_f32 v66, v8, v38
	v_mul_f32_e32 v9, v9, v52
	v_fma_f32 v38, v8, v39, -v67
	v_fmac_f32_e32 v69, v10, v40
	v_fmac_f32_e32 v71, v0, v46
	v_fma_f32 v40, v0, v47, -v72
	v_fmac_f32_e32 v73, v2, v48
	v_dual_fmac_f32 v75, v8, v52 :: v_dual_mul_f32 v52, v15, v45
	v_fma_f32 v46, v8, v53, -v9
	v_mul_f32_e32 v8, v11, v42
	v_dual_mul_f32 v48, v1, v61 :: v_dual_mul_f32 v47, v11, v43
	v_mul_f32_e32 v1, v1, v60
	v_fma_f32 v39, v10, v41, -v70
	v_fma_f32 v41, v2, v49, -v74
	s_delay_alu instid0(VALU_DEP_4) | instskip(SKIP_4) | instid1(VALU_DEP_3)
	v_dual_fmac_f32 v48, v0, v60 :: v_dual_fmac_f32 v47, v10, v42
	v_fma_f32 v42, v10, v43, -v8
	v_fma_f32 v43, v0, v61, -v1
	v_mul_f32_e32 v0, v3, v50
	v_dual_mul_f32 v49, v3, v51 :: v_dual_fmac_f32 v52, v14, v44
	v_dual_mul_f32 v3, v15, v44 :: v_dual_add_f32 v44, v42, v43
	s_delay_alu instid0(VALU_DEP_3) | instskip(NEXT) | instid1(VALU_DEP_3)
	v_fma_f32 v51, v2, v51, -v0
	v_dual_add_f32 v0, v69, v71 :: v_dual_fmac_f32 v49, v2, v50
	v_mul_f32_e32 v50, v13, v55
	v_add_f32_e32 v2, v56, v66
	v_fma_f32 v45, v14, v45, -v3
	s_delay_alu instid0(VALU_DEP_4)
	v_fma_f32 v0, -0.5, v0, v56
	v_dual_sub_f32 v3, v38, v41 :: v_dual_sub_f32 v8, v73, v71
	v_mul_f32_e32 v1, v13, v54
	v_fmac_f32_e32 v50, v12, v54
	v_dual_mul_f32 v54, v5, v63 :: v_dual_add_f32 v9, v66, v73
	v_sub_f32_e32 v13, v41, v40
	s_delay_alu instid0(VALU_DEP_4) | instskip(SKIP_1) | instid1(VALU_DEP_4)
	v_fma_f32 v53, v12, v55, -v1
	v_mul_f32_e32 v1, v5, v62
	v_dual_mul_f32 v55, v7, v65 :: v_dual_fmac_f32 v54, v4, v62
	v_sub_f32_e32 v12, v69, v71
	v_sub_f32_e32 v14, v40, v41
	s_delay_alu instid0(VALU_DEP_4) | instskip(SKIP_3) | instid1(VALU_DEP_3)
	v_fma_f32 v60, v4, v63, -v1
	v_sub_f32_e32 v4, v66, v69
	v_dual_add_f32 v1, v2, v69 :: v_dual_fmamk_f32 v2, v3, 0xbf737871, v0
	v_fmac_f32_e32 v0, 0x3f737871, v3
	v_add_f32_e32 v10, v4, v8
	v_mul_f32_e32 v7, v7, v64
	s_delay_alu instid0(VALU_DEP_4)
	v_add_f32_e32 v1, v1, v71
	v_sub_f32_e32 v5, v39, v40
	v_fmac_f32_e32 v55, v6, v64
	v_fma_f32 v4, -0.5, v9, v56
	v_fma_f32 v56, v6, v65, -v7
	v_add_f32_e32 v6, v1, v73
	v_fmac_f32_e32 v2, 0xbf167918, v5
	v_fmac_f32_e32 v0, 0x3f167918, v5
	v_dual_fmamk_f32 v8, v5, 0x3f737871, v4 :: v_dual_sub_f32 v7, v71, v73
	v_sub_f32_e32 v1, v69, v66
	s_delay_alu instid0(VALU_DEP_4)
	v_fmac_f32_e32 v2, 0x3e9e377a, v10
	v_dual_add_f32 v9, v57, v38 :: v_dual_fmac_f32 v4, 0xbf737871, v5
	v_dual_add_f32 v11, v39, v40 :: v_dual_fmac_f32 v0, 0x3e9e377a, v10
	v_sub_f32_e32 v10, v38, v39
	v_fmac_f32_e32 v8, 0xbf167918, v3
	v_add_f32_e32 v7, v1, v7
	v_add_f32_e32 v5, v9, v39
	v_fma_f32 v1, -0.5, v11, v57
	v_dual_add_f32 v13, v10, v13 :: v_dual_sub_f32 v10, v39, v38
	s_delay_alu instid0(VALU_DEP_4) | instskip(NEXT) | instid1(VALU_DEP_4)
	v_dual_sub_f32 v11, v66, v73 :: v_dual_fmac_f32 v8, 0x3e9e377a, v7
	v_dual_fmac_f32 v4, 0x3f167918, v3 :: v_dual_add_f32 v9, v5, v40
	v_add_f32_e32 v5, v38, v41
	s_delay_alu instid0(VALU_DEP_3)
	v_fmamk_f32 v3, v11, 0x3f737871, v1
	v_dual_fmac_f32 v1, 0xbf737871, v11 :: v_dual_sub_f32 v40, v49, v48
	v_sub_f32_e32 v39, v42, v43
	v_dual_add_f32 v15, v47, v48 :: v_dual_fmac_f32 v4, 0x3e9e377a, v7
	v_fma_f32 v5, -0.5, v5, v57
	v_dual_add_f32 v7, v9, v41 :: v_dual_add_f32 v14, v10, v14
	v_dual_fmac_f32 v3, 0x3f167918, v12 :: v_dual_add_f32 v38, v58, v75
	v_fmac_f32_e32 v1, 0xbf167918, v12
	v_fma_f32 v10, -0.5, v15, v58
	v_sub_f32_e32 v15, v46, v51
	v_add_f32_e32 v41, v75, v49
	v_fmamk_f32 v9, v12, 0xbf737871, v5
	v_fmac_f32_e32 v5, 0x3f737871, v12
	s_delay_alu instid0(VALU_DEP_4)
	v_fmamk_f32 v12, v15, 0xbf737871, v10
	v_fmac_f32_e32 v3, 0x3e9e377a, v13
	v_fmac_f32_e32 v1, 0x3e9e377a, v13
	v_fma_f32 v58, -0.5, v41, v58
	v_add_f32_e32 v13, v38, v47
	v_sub_f32_e32 v38, v75, v47
	v_fmac_f32_e32 v9, 0x3f167918, v11
	v_fmac_f32_e32 v5, 0xbf167918, v11
	s_delay_alu instid0(VALU_DEP_4) | instskip(NEXT) | instid1(VALU_DEP_4)
	v_dual_fmac_f32 v12, 0xbf167918, v39 :: v_dual_add_f32 v11, v13, v48
	v_dual_add_f32 v13, v38, v40 :: v_dual_fmamk_f32 v38, v39, 0x3f737871, v58
	s_delay_alu instid0(VALU_DEP_3) | instskip(NEXT) | instid1(VALU_DEP_2)
	v_dual_fmac_f32 v5, 0x3e9e377a, v14 :: v_dual_sub_f32 v40, v48, v49
	v_fmac_f32_e32 v12, 0x3e9e377a, v13
	v_fmac_f32_e32 v10, 0x3f737871, v15
	s_delay_alu instid0(VALU_DEP_4) | instskip(NEXT) | instid1(VALU_DEP_2)
	v_fmac_f32_e32 v38, 0xbf167918, v15
	v_fmac_f32_e32 v10, 0x3f167918, v39
	v_dual_fmac_f32 v9, 0x3e9e377a, v14 :: v_dual_add_f32 v14, v11, v49
	v_sub_f32_e32 v11, v47, v75
	s_delay_alu instid0(VALU_DEP_1) | instskip(SKIP_3) | instid1(VALU_DEP_4)
	v_add_f32_e32 v40, v11, v40
	v_fma_f32 v11, -0.5, v44, v59
	v_dual_sub_f32 v44, v47, v48 :: v_dual_sub_f32 v47, v46, v42
	v_sub_f32_e32 v48, v51, v43
	v_fmac_f32_e32 v38, 0x3e9e377a, v40
	v_dual_fmac_f32 v58, 0xbf737871, v39 :: v_dual_add_f32 v41, v59, v46
	v_fmac_f32_e32 v10, 0x3e9e377a, v13
	s_delay_alu instid0(VALU_DEP_2) | instskip(SKIP_1) | instid1(VALU_DEP_2)
	v_dual_fmac_f32 v58, 0x3f167918, v15 :: v_dual_add_f32 v39, v41, v42
	v_sub_f32_e32 v41, v75, v49
	v_dual_add_f32 v49, v50, v55 :: v_dual_fmac_f32 v58, 0x3e9e377a, v40
	v_sub_f32_e32 v40, v42, v46
	v_sub_f32_e32 v42, v43, v51
	v_add_f32_e32 v15, v39, v43
	v_add_f32_e32 v39, v46, v51
	;; [unrolled: 1-line block ×3, first 2 shown]
	s_delay_alu instid0(VALU_DEP_4) | instskip(NEXT) | instid1(VALU_DEP_3)
	v_dual_fmamk_f32 v13, v41, 0x3f737871, v11 :: v_dual_add_f32 v46, v40, v42
	v_dual_add_f32 v42, v36, v50 :: v_dual_fmac_f32 v59, -0.5, v39
	s_delay_alu instid0(VALU_DEP_3)
	v_fma_f32 v40, -0.5, v43, v36
	v_fma_f32 v36, -0.5, v49, v36
	v_fmac_f32_e32 v11, 0xbf737871, v41
	v_sub_f32_e32 v49, v54, v55
	v_fmamk_f32 v39, v44, 0xbf737871, v59
	v_fmac_f32_e32 v59, 0x3f737871, v44
	v_sub_f32_e32 v43, v53, v56
	v_fmac_f32_e32 v13, 0x3f167918, v44
	s_delay_alu instid0(VALU_DEP_4) | instskip(NEXT) | instid1(VALU_DEP_4)
	v_fmac_f32_e32 v39, 0x3f167918, v41
	v_fmac_f32_e32 v59, 0xbf167918, v41
	s_delay_alu instid0(VALU_DEP_4) | instskip(SKIP_2) | instid1(VALU_DEP_3)
	v_dual_add_f32 v41, v42, v52 :: v_dual_fmamk_f32 v42, v43, 0xbf737871, v40
	v_fmac_f32_e32 v11, 0xbf167918, v44
	v_sub_f32_e32 v44, v50, v52
	v_dual_fmac_f32 v40, 0x3f737871, v43 :: v_dual_add_f32 v41, v41, v54
	v_add_f32_e32 v47, v47, v48
	v_sub_f32_e32 v48, v55, v54
	v_add_f32_e32 v15, v15, v51
	v_fmac_f32_e32 v59, 0x3e9e377a, v46
	v_sub_f32_e32 v51, v52, v54
	s_delay_alu instid0(VALU_DEP_4) | instskip(SKIP_4) | instid1(VALU_DEP_1)
	v_add_f32_e32 v48, v44, v48
	v_add_f32_e32 v44, v41, v55
	v_fmac_f32_e32 v13, 0x3e9e377a, v47
	v_fmac_f32_e32 v11, 0x3e9e377a, v47
	v_sub_f32_e32 v47, v45, v60
	v_dual_add_f32 v41, v45, v60 :: v_dual_fmac_f32 v42, 0xbf167918, v47
	v_fmac_f32_e32 v40, 0x3f167918, v47
	s_delay_alu instid0(VALU_DEP_2) | instskip(NEXT) | instid1(VALU_DEP_3)
	v_fma_f32 v41, -0.5, v41, v37
	v_fmac_f32_e32 v42, 0x3e9e377a, v48
	s_delay_alu instid0(VALU_DEP_3) | instskip(SKIP_3) | instid1(VALU_DEP_3)
	v_fmac_f32_e32 v40, 0x3e9e377a, v48
	v_sub_f32_e32 v48, v52, v50
	v_sub_f32_e32 v50, v50, v55
	;; [unrolled: 1-line block ×3, first 2 shown]
	v_dual_add_f32 v48, v48, v49 :: v_dual_fmac_f32 v39, 0x3e9e377a, v46
	v_fmamk_f32 v46, v47, 0x3f737871, v36
	v_dual_fmac_f32 v36, 0xbf737871, v47 :: v_dual_add_f32 v47, v37, v53
	s_delay_alu instid0(VALU_DEP_2) | instskip(NEXT) | instid1(VALU_DEP_2)
	v_dual_add_f32 v49, v53, v56 :: v_dual_fmac_f32 v46, 0xbf167918, v43
	v_dual_fmac_f32 v36, 0x3f167918, v43 :: v_dual_add_f32 v47, v47, v45
	s_delay_alu instid0(VALU_DEP_2) | instskip(SKIP_1) | instid1(VALU_DEP_4)
	v_fmac_f32_e32 v37, -0.5, v49
	v_fmamk_f32 v43, v50, 0x3f737871, v41
	v_fmac_f32_e32 v46, 0x3e9e377a, v48
	s_delay_alu instid0(VALU_DEP_4)
	v_fmac_f32_e32 v36, 0x3e9e377a, v48
	v_dual_add_f32 v48, v47, v60 :: v_dual_sub_f32 v49, v53, v45
	v_fmac_f32_e32 v41, 0xbf737871, v50
	v_fmamk_f32 v47, v51, 0xbf737871, v37
	v_sub_f32_e32 v45, v45, v53
	v_sub_f32_e32 v53, v60, v56
	v_fmac_f32_e32 v37, 0x3f737871, v51
	v_fmac_f32_e32 v43, 0x3f167918, v51
	v_add_f32_e32 v49, v49, v52
	v_fmac_f32_e32 v41, 0xbf167918, v51
	v_add_f32_e32 v51, v45, v53
	v_fmac_f32_e32 v37, 0xbf167918, v50
	v_fmac_f32_e32 v47, 0x3f167918, v50
	;; [unrolled: 1-line block ×4, first 2 shown]
	v_add_f32_e32 v45, v48, v56
	v_fmac_f32_e32 v37, 0x3e9e377a, v51
	v_fmac_f32_e32 v47, 0x3e9e377a, v51
	ds_store_2addr_b64 v88, v[6:7], v[2:3] offset1:17
	ds_store_2addr_b64 v88, v[8:9], v[4:5] offset0:34 offset1:51
	ds_store_2addr_b64 v88, v[0:1], v[14:15] offset0:68 offset1:85
	ds_store_2addr_b64 v88, v[12:13], v[38:39] offset0:102 offset1:119
	ds_store_2addr_b64 v88, v[58:59], v[10:11] offset0:136 offset1:153
	ds_store_2addr_b64 v89, v[44:45], v[42:43] offset0:170 offset1:187
	ds_store_2addr_b64 v89, v[46:47], v[36:37] offset0:204 offset1:221
	ds_store_b64 v89, v[40:41] offset:1904
	global_wb scope:SCOPE_SE
	s_wait_dscnt 0x0
	s_barrier_signal -1
	s_barrier_wait -1
	global_inv scope:SCOPE_SE
	ds_load_2addr_b64 v[0:3], v88 offset0:68 offset1:85
	ds_load_2addr_b64 v[4:7], v88 offset0:170 offset1:187
	;; [unrolled: 1-line block ×3, first 2 shown]
	ds_load_2addr_b64 v[12:15], v88 offset1:17
	ds_load_2addr_b64 v[36:39], v88 offset0:34 offset1:51
	ds_load_2addr_b64 v[40:43], v88 offset0:204 offset1:221
	;; [unrolled: 1-line block ×3, first 2 shown]
	ds_load_b64 v[48:49], v88 offset:1904
	s_wait_dscnt 0x6
	v_dual_mul_f32 v50, v33, v3 :: v_dual_mul_f32 v51, v35, v5
	s_delay_alu instid0(VALU_DEP_1) | instskip(SKIP_3) | instid1(VALU_DEP_2)
	v_dual_fmac_f32 v50, v32, v2 :: v_dual_fmac_f32 v51, v34, v4
	v_dual_mul_f32 v33, v33, v2 :: v_dual_mul_f32 v2, v35, v4
	s_wait_dscnt 0x5
	v_mul_f32_e32 v4, v29, v8
	v_fma_f32 v3, v32, v3, -v33
	v_mul_f32_e32 v32, v29, v9
	v_fma_f32 v5, v34, v5, -v2
	;; [unrolled: 2-line block ×3, first 2 shown]
	v_mul_f32_e32 v4, v25, v10
	v_fmac_f32_e32 v32, v28, v8
	v_mul_f32_e32 v28, v25, v11
	v_sub_f32_e32 v8, v3, v5
	v_mul_f32_e32 v29, v31, v7
	v_fma_f32 v25, v30, v7, -v2
	s_wait_dscnt 0x2
	v_mul_f32_e32 v2, v27, v40
	v_fmac_f32_e32 v28, v24, v10
	v_fma_f32 v24, v24, v11, -v4
	v_dual_fmac_f32 v29, v30, v6 :: v_dual_mul_f32 v30, v27, v41
	s_wait_dscnt 0x1
	v_mul_f32_e32 v4, v21, v44
	v_mul_f32_e32 v27, v21, v45
	v_fma_f32 v21, v26, v41, -v2
	v_mul_f32_e32 v2, v23, v42
	v_fmac_f32_e32 v30, v26, v40
	v_mul_f32_e32 v26, v23, v43
	v_fma_f32 v23, v20, v45, -v4
	v_mul_f32_e32 v4, v17, v46
	v_fma_f32 v33, v22, v43, -v2
	s_wait_dscnt 0x0
	v_mul_f32_e32 v2, v19, v48
	v_add_f32_e32 v6, v12, v50
	v_add_f32_e32 v10, v13, v3
	v_fma_f32 v35, v16, v47, -v4
	v_add_f32_e32 v4, v50, v51
	v_fma_f32 v40, v18, v49, -v2
	v_add_f32_e32 v7, v3, v5
	v_add_f32_e32 v5, v10, v5
	;; [unrolled: 1-line block ×3, first 2 shown]
	v_fma_f32 v2, -0.5, v4, v12
	v_add_f32_e32 v4, v6, v51
	v_sub_f32_e32 v12, v9, v25
	v_dual_mul_f32 v31, v17, v47 :: v_dual_mul_f32 v34, v19, v49
	s_delay_alu instid0(VALU_DEP_4) | instskip(SKIP_2) | instid1(VALU_DEP_4)
	v_fmamk_f32 v6, v8, 0xbf5db3d7, v2
	v_fmac_f32_e32 v2, 0x3f5db3d7, v8
	v_dual_add_f32 v8, v32, v29 :: v_dual_sub_f32 v11, v50, v51
	v_dual_fmac_f32 v34, v18, v48 :: v_dual_sub_f32 v17, v24, v21
	v_fmac_f32_e32 v26, v22, v42
	s_delay_alu instid0(VALU_DEP_3) | instskip(SKIP_2) | instid1(VALU_DEP_3)
	v_fma_f32 v14, -0.5, v8, v14
	v_dual_add_f32 v8, v10, v29 :: v_dual_fmac_f32 v31, v16, v46
	v_add_f32_e32 v16, v36, v28
	v_fmamk_f32 v10, v12, 0xbf5db3d7, v14
	v_fmac_f32_e32 v14, 0x3f5db3d7, v12
	v_add_f32_e32 v12, v28, v30
	v_fma_f32 v3, -0.5, v7, v13
	v_dual_add_f32 v19, v37, v24 :: v_dual_add_f32 v16, v16, v30
	s_delay_alu instid0(VALU_DEP_3) | instskip(SKIP_1) | instid1(VALU_DEP_4)
	v_fma_f32 v12, -0.5, v12, v36
	v_fmac_f32_e32 v27, v20, v44
	v_dual_fmamk_f32 v7, v11, 0x3f5db3d7, v3 :: v_dual_sub_f32 v20, v28, v30
	s_delay_alu instid0(VALU_DEP_3) | instskip(NEXT) | instid1(VALU_DEP_3)
	v_dual_fmac_f32 v3, 0xbf5db3d7, v11 :: v_dual_fmamk_f32 v18, v17, 0xbf5db3d7, v12
	v_dual_add_f32 v11, v9, v25 :: v_dual_add_f32 v22, v38, v27
	v_add_f32_e32 v9, v15, v9
	v_sub_f32_e32 v13, v32, v29
	s_delay_alu instid0(VALU_DEP_3) | instskip(SKIP_1) | instid1(VALU_DEP_2)
	v_dual_fmac_f32 v12, 0x3f5db3d7, v17 :: v_dual_fmac_f32 v15, -0.5, v11
	v_add_f32_e32 v17, v19, v21
	v_dual_sub_f32 v28, v31, v34 :: v_dual_fmamk_f32 v11, v13, 0x3f5db3d7, v15
	v_fmac_f32_e32 v15, 0xbf5db3d7, v13
	v_add_f32_e32 v13, v24, v21
	v_add_f32_e32 v21, v27, v26
	;; [unrolled: 1-line block ×3, first 2 shown]
	s_delay_alu instid0(VALU_DEP_3) | instskip(NEXT) | instid1(VALU_DEP_3)
	v_fma_f32 v13, -0.5, v13, v37
	v_fma_f32 v38, -0.5, v21, v38
	v_sub_f32_e32 v21, v23, v33
	v_add_f32_e32 v23, v39, v23
	v_dual_fmac_f32 v39, -0.5, v24 :: v_dual_sub_f32 v24, v27, v26
	v_fmamk_f32 v19, v20, 0x3f5db3d7, v13
	v_dual_fmac_f32 v13, 0xbf5db3d7, v20 :: v_dual_add_f32 v20, v22, v26
	v_add_f32_e32 v9, v9, v25
	v_fmamk_f32 v22, v21, 0xbf5db3d7, v38
	v_fmac_f32_e32 v38, 0x3f5db3d7, v21
	v_add_f32_e32 v21, v23, v33
	v_add_f32_e32 v25, v31, v34
	v_fmamk_f32 v23, v24, 0x3f5db3d7, v39
	v_fmac_f32_e32 v39, 0xbf5db3d7, v24
	v_add_f32_e32 v24, v35, v40
	v_add_f32_e32 v26, v0, v31
	v_fma_f32 v0, -0.5, v25, v0
	v_sub_f32_e32 v25, v35, v40
	v_add_f32_e32 v27, v1, v35
	s_delay_alu instid0(VALU_DEP_4) | instskip(NEXT) | instid1(VALU_DEP_3)
	v_dual_fmac_f32 v1, -0.5, v24 :: v_dual_add_f32 v24, v26, v34
	v_fmamk_f32 v26, v25, 0xbf5db3d7, v0
	s_delay_alu instid0(VALU_DEP_3) | instskip(NEXT) | instid1(VALU_DEP_3)
	v_dual_fmac_f32 v0, 0x3f5db3d7, v25 :: v_dual_add_f32 v25, v27, v40
	v_fmamk_f32 v27, v28, 0x3f5db3d7, v1
	v_fmac_f32_e32 v1, 0xbf5db3d7, v28
	ds_store_2addr_b64 v90, v[4:5], v[8:9] offset1:17
	ds_store_2addr_b64 v90, v[6:7], v[10:11] offset0:85 offset1:102
	ds_store_2addr_b64 v90, v[2:3], v[14:15] offset0:170 offset1:187
	ds_store_b64 v90, v[16:17] offset:272
	ds_store_2addr_b64 v93, v[18:19], v[12:13] offset0:85 offset1:170
	ds_store_b64 v90, v[20:21] offset:408
	;; [unrolled: 2-line block ×3, first 2 shown]
	ds_store_2addr_b64 v91, v[26:27], v[0:1] offset0:85 offset1:170
	global_wb scope:SCOPE_SE
	s_wait_dscnt 0x0
	s_barrier_signal -1
	s_barrier_wait -1
	global_inv scope:SCOPE_SE
	s_and_b32 exec_lo, exec_lo, vcc_lo
	s_cbranch_execz .LBB0_15
; %bb.14:
	global_load_b64 v[0:1], v84, s[12:13]
	ds_load_b64 v[2:3], v90
	v_mad_co_u64_u32 v[6:7], null, s4, v86, 0
	s_mov_b32 s0, 0x10101010
	s_mov_b32 s1, 0x3f701010
	v_lshl_add_u32 v10, v85, 3, v84
	s_mul_u64 s[2:3], s[4:5], 0x78
	s_wait_loadcnt_dscnt 0x0
	v_mul_f32_e32 v4, v3, v1
	v_mul_f32_e32 v1, v2, v1
	s_delay_alu instid0(VALU_DEP_2) | instskip(NEXT) | instid1(VALU_DEP_2)
	v_fmac_f32_e32 v4, v2, v0
	v_fma_f32 v2, v0, v3, -v1
	s_delay_alu instid0(VALU_DEP_2) | instskip(NEXT) | instid1(VALU_DEP_2)
	v_cvt_f64_f32_e32 v[0:1], v4
	v_cvt_f64_f32_e32 v[2:3], v2
	v_mad_co_u64_u32 v[4:5], null, s6, v68, 0
	s_wait_alu 0xfffe
	s_delay_alu instid0(VALU_DEP_3) | instskip(NEXT) | instid1(VALU_DEP_3)
	v_mul_f64_e32 v[0:1], s[0:1], v[0:1]
	v_mul_f64_e32 v[2:3], s[0:1], v[2:3]
	s_delay_alu instid0(VALU_DEP_2) | instskip(NEXT) | instid1(VALU_DEP_2)
	v_cvt_f32_f64_e32 v0, v[0:1]
	v_cvt_f32_f64_e32 v1, v[2:3]
	v_dual_mov_b32 v3, v7 :: v_dual_mov_b32 v2, v5
	s_delay_alu instid0(VALU_DEP_1) | instskip(SKIP_1) | instid1(VALU_DEP_2)
	v_mad_co_u64_u32 v[7:8], null, s7, v68, v[2:3]
	v_mad_co_u64_u32 v[2:3], null, s5, v86, v[3:4]
	v_mov_b32_e32 v5, v7
	s_delay_alu instid0(VALU_DEP_2) | instskip(NEXT) | instid1(VALU_DEP_2)
	v_mov_b32_e32 v7, v2
	v_lshlrev_b64_e32 v[2:3], 3, v[4:5]
	s_delay_alu instid0(VALU_DEP_2) | instskip(NEXT) | instid1(VALU_DEP_2)
	v_lshlrev_b64_e32 v[4:5], 3, v[6:7]
	v_add_co_u32 v8, vcc_lo, s14, v2
	s_delay_alu instid0(VALU_DEP_3) | instskip(NEXT) | instid1(VALU_DEP_2)
	v_add_co_ci_u32_e32 v9, vcc_lo, s15, v3, vcc_lo
	v_add_co_u32 v4, vcc_lo, v8, v4
	s_wait_alu 0xfffd
	s_delay_alu instid0(VALU_DEP_2)
	v_add_co_ci_u32_e32 v5, vcc_lo, v9, v5, vcc_lo
	global_store_b64 v[4:5], v[0:1], off
	global_load_b64 v[6:7], v84, s[12:13] offset:120
	ds_load_2addr_b64 v[0:3], v10 offset0:15 offset1:30
	v_add_co_u32 v4, vcc_lo, v4, s2
	s_wait_alu 0xfffd
	v_add_co_ci_u32_e32 v5, vcc_lo, s3, v5, vcc_lo
	s_wait_loadcnt_dscnt 0x0
	v_mul_f32_e32 v11, v1, v7
	v_mul_f32_e32 v7, v0, v7
	s_delay_alu instid0(VALU_DEP_2) | instskip(NEXT) | instid1(VALU_DEP_2)
	v_fmac_f32_e32 v11, v0, v6
	v_fma_f32 v6, v6, v1, -v7
	s_delay_alu instid0(VALU_DEP_2) | instskip(NEXT) | instid1(VALU_DEP_2)
	v_cvt_f64_f32_e32 v[0:1], v11
	v_cvt_f64_f32_e32 v[6:7], v6
	s_delay_alu instid0(VALU_DEP_2) | instskip(NEXT) | instid1(VALU_DEP_2)
	v_mul_f64_e32 v[0:1], s[0:1], v[0:1]
	v_mul_f64_e32 v[6:7], s[0:1], v[6:7]
	s_delay_alu instid0(VALU_DEP_2) | instskip(NEXT) | instid1(VALU_DEP_2)
	v_cvt_f32_f64_e32 v0, v[0:1]
	v_cvt_f32_f64_e32 v1, v[6:7]
	global_store_b64 v[4:5], v[0:1], off
	global_load_b64 v[0:1], v84, s[12:13] offset:240
	v_add_co_u32 v4, vcc_lo, v4, s2
	s_wait_alu 0xfffd
	v_add_co_ci_u32_e32 v5, vcc_lo, s3, v5, vcc_lo
	s_wait_loadcnt 0x0
	v_mul_f32_e32 v6, v3, v1
	v_mul_f32_e32 v1, v2, v1
	s_delay_alu instid0(VALU_DEP_2) | instskip(NEXT) | instid1(VALU_DEP_2)
	v_fmac_f32_e32 v6, v2, v0
	v_fma_f32 v2, v0, v3, -v1
	s_delay_alu instid0(VALU_DEP_2) | instskip(NEXT) | instid1(VALU_DEP_2)
	v_cvt_f64_f32_e32 v[0:1], v6
	v_cvt_f64_f32_e32 v[2:3], v2
	s_delay_alu instid0(VALU_DEP_2) | instskip(NEXT) | instid1(VALU_DEP_2)
	v_mul_f64_e32 v[0:1], s[0:1], v[0:1]
	v_mul_f64_e32 v[2:3], s[0:1], v[2:3]
	s_delay_alu instid0(VALU_DEP_2) | instskip(NEXT) | instid1(VALU_DEP_2)
	v_cvt_f32_f64_e32 v0, v[0:1]
	v_cvt_f32_f64_e32 v1, v[2:3]
	global_store_b64 v[4:5], v[0:1], off
	global_load_b64 v[6:7], v84, s[12:13] offset:360
	ds_load_2addr_b64 v[0:3], v10 offset0:45 offset1:60
	v_add_co_u32 v4, vcc_lo, v4, s2
	s_wait_alu 0xfffd
	v_add_co_ci_u32_e32 v5, vcc_lo, s3, v5, vcc_lo
	s_wait_loadcnt_dscnt 0x0
	v_mul_f32_e32 v11, v1, v7
	v_mul_f32_e32 v7, v0, v7
	s_delay_alu instid0(VALU_DEP_2) | instskip(NEXT) | instid1(VALU_DEP_2)
	v_fmac_f32_e32 v11, v0, v6
	v_fma_f32 v6, v6, v1, -v7
	s_delay_alu instid0(VALU_DEP_2) | instskip(NEXT) | instid1(VALU_DEP_2)
	v_cvt_f64_f32_e32 v[0:1], v11
	v_cvt_f64_f32_e32 v[6:7], v6
	s_delay_alu instid0(VALU_DEP_2) | instskip(NEXT) | instid1(VALU_DEP_2)
	v_mul_f64_e32 v[0:1], s[0:1], v[0:1]
	v_mul_f64_e32 v[6:7], s[0:1], v[6:7]
	s_delay_alu instid0(VALU_DEP_2) | instskip(NEXT) | instid1(VALU_DEP_2)
	v_cvt_f32_f64_e32 v0, v[0:1]
	v_cvt_f32_f64_e32 v1, v[6:7]
	global_store_b64 v[4:5], v[0:1], off
	global_load_b64 v[0:1], v84, s[12:13] offset:480
	v_add_co_u32 v4, vcc_lo, v4, s2
	s_wait_alu 0xfffd
	v_add_co_ci_u32_e32 v5, vcc_lo, s3, v5, vcc_lo
	s_wait_loadcnt 0x0
	v_mul_f32_e32 v6, v3, v1
	v_mul_f32_e32 v1, v2, v1
	s_delay_alu instid0(VALU_DEP_2) | instskip(NEXT) | instid1(VALU_DEP_2)
	v_fmac_f32_e32 v6, v2, v0
	v_fma_f32 v2, v0, v3, -v1
	s_delay_alu instid0(VALU_DEP_2) | instskip(NEXT) | instid1(VALU_DEP_2)
	v_cvt_f64_f32_e32 v[0:1], v6
	v_cvt_f64_f32_e32 v[2:3], v2
	s_delay_alu instid0(VALU_DEP_2) | instskip(NEXT) | instid1(VALU_DEP_2)
	v_mul_f64_e32 v[0:1], s[0:1], v[0:1]
	v_mul_f64_e32 v[2:3], s[0:1], v[2:3]
	s_delay_alu instid0(VALU_DEP_2) | instskip(NEXT) | instid1(VALU_DEP_2)
	v_cvt_f32_f64_e32 v0, v[0:1]
	v_cvt_f32_f64_e32 v1, v[2:3]
	;; [unrolled: 41-line block ×7, first 2 shown]
	global_store_b64 v[4:5], v[0:1], off
	global_load_b64 v[6:7], v84, s[12:13] offset:1800
	ds_load_2addr_b64 v[0:3], v10 offset0:225 offset1:240
	v_add_co_u32 v4, vcc_lo, v4, s2
	s_wait_alu 0xfffd
	v_add_co_ci_u32_e32 v5, vcc_lo, s3, v5, vcc_lo
	s_wait_loadcnt_dscnt 0x0
	v_mul_f32_e32 v10, v1, v7
	v_mul_f32_e32 v7, v0, v7
	s_delay_alu instid0(VALU_DEP_2) | instskip(NEXT) | instid1(VALU_DEP_2)
	v_fmac_f32_e32 v10, v0, v6
	v_fma_f32 v6, v6, v1, -v7
	s_delay_alu instid0(VALU_DEP_2) | instskip(NEXT) | instid1(VALU_DEP_2)
	v_cvt_f64_f32_e32 v[0:1], v10
	v_cvt_f64_f32_e32 v[6:7], v6
	s_delay_alu instid0(VALU_DEP_2) | instskip(NEXT) | instid1(VALU_DEP_2)
	v_mul_f64_e32 v[0:1], s[0:1], v[0:1]
	v_mul_f64_e32 v[6:7], s[0:1], v[6:7]
	s_delay_alu instid0(VALU_DEP_2) | instskip(NEXT) | instid1(VALU_DEP_2)
	v_cvt_f32_f64_e32 v0, v[0:1]
	v_cvt_f32_f64_e32 v1, v[6:7]
	global_store_b64 v[4:5], v[0:1], off
	global_load_b64 v[0:1], v84, s[12:13] offset:1920
	s_wait_loadcnt 0x0
	v_mul_f32_e32 v4, v3, v1
	v_mul_f32_e32 v1, v2, v1
	s_delay_alu instid0(VALU_DEP_2) | instskip(NEXT) | instid1(VALU_DEP_2)
	v_fmac_f32_e32 v4, v2, v0
	v_fma_f32 v2, v0, v3, -v1
	s_delay_alu instid0(VALU_DEP_2) | instskip(NEXT) | instid1(VALU_DEP_2)
	v_cvt_f64_f32_e32 v[0:1], v4
	v_cvt_f64_f32_e32 v[2:3], v2
	v_mad_co_u64_u32 v[4:5], null, s4, v83, 0
	s_delay_alu instid0(VALU_DEP_3) | instskip(NEXT) | instid1(VALU_DEP_3)
	v_mul_f64_e32 v[0:1], s[0:1], v[0:1]
	v_mul_f64_e32 v[2:3], s[0:1], v[2:3]
	s_delay_alu instid0(VALU_DEP_2) | instskip(NEXT) | instid1(VALU_DEP_2)
	v_cvt_f32_f64_e32 v0, v[0:1]
	v_cvt_f32_f64_e32 v1, v[2:3]
	v_mov_b32_e32 v2, v5
	s_delay_alu instid0(VALU_DEP_1) | instskip(NEXT) | instid1(VALU_DEP_1)
	v_mad_co_u64_u32 v[2:3], null, s5, v83, v[2:3]
	v_mov_b32_e32 v5, v2
	s_delay_alu instid0(VALU_DEP_1) | instskip(NEXT) | instid1(VALU_DEP_1)
	v_lshlrev_b64_e32 v[2:3], 3, v[4:5]
	v_add_co_u32 v2, vcc_lo, v8, v2
	s_wait_alu 0xfffd
	s_delay_alu instid0(VALU_DEP_2)
	v_add_co_ci_u32_e32 v3, vcc_lo, v9, v3, vcc_lo
	global_store_b64 v[2:3], v[0:1], off
.LBB0_15:
	s_nop 0
	s_sendmsg sendmsg(MSG_DEALLOC_VGPRS)
	s_endpgm
	.section	.rodata,"a",@progbits
	.p2align	6, 0x0
	.amdhsa_kernel bluestein_single_fwd_len255_dim1_sp_op_CI_CI
		.amdhsa_group_segment_fixed_size 6120
		.amdhsa_private_segment_fixed_size 0
		.amdhsa_kernarg_size 104
		.amdhsa_user_sgpr_count 2
		.amdhsa_user_sgpr_dispatch_ptr 0
		.amdhsa_user_sgpr_queue_ptr 0
		.amdhsa_user_sgpr_kernarg_segment_ptr 1
		.amdhsa_user_sgpr_dispatch_id 0
		.amdhsa_user_sgpr_private_segment_size 0
		.amdhsa_wavefront_size32 1
		.amdhsa_uses_dynamic_stack 0
		.amdhsa_enable_private_segment 0
		.amdhsa_system_sgpr_workgroup_id_x 1
		.amdhsa_system_sgpr_workgroup_id_y 0
		.amdhsa_system_sgpr_workgroup_id_z 0
		.amdhsa_system_sgpr_workgroup_info 0
		.amdhsa_system_vgpr_workitem_id 0
		.amdhsa_next_free_vgpr 234
		.amdhsa_next_free_sgpr 16
		.amdhsa_reserve_vcc 1
		.amdhsa_float_round_mode_32 0
		.amdhsa_float_round_mode_16_64 0
		.amdhsa_float_denorm_mode_32 3
		.amdhsa_float_denorm_mode_16_64 3
		.amdhsa_fp16_overflow 0
		.amdhsa_workgroup_processor_mode 1
		.amdhsa_memory_ordered 1
		.amdhsa_forward_progress 0
		.amdhsa_round_robin_scheduling 0
		.amdhsa_exception_fp_ieee_invalid_op 0
		.amdhsa_exception_fp_denorm_src 0
		.amdhsa_exception_fp_ieee_div_zero 0
		.amdhsa_exception_fp_ieee_overflow 0
		.amdhsa_exception_fp_ieee_underflow 0
		.amdhsa_exception_fp_ieee_inexact 0
		.amdhsa_exception_int_div_zero 0
	.end_amdhsa_kernel
	.text
.Lfunc_end0:
	.size	bluestein_single_fwd_len255_dim1_sp_op_CI_CI, .Lfunc_end0-bluestein_single_fwd_len255_dim1_sp_op_CI_CI
                                        ; -- End function
	.section	.AMDGPU.csdata,"",@progbits
; Kernel info:
; codeLenInByte = 20356
; NumSgprs: 18
; NumVgprs: 234
; ScratchSize: 0
; MemoryBound: 0
; FloatMode: 240
; IeeeMode: 1
; LDSByteSize: 6120 bytes/workgroup (compile time only)
; SGPRBlocks: 2
; VGPRBlocks: 29
; NumSGPRsForWavesPerEU: 18
; NumVGPRsForWavesPerEU: 234
; Occupancy: 6
; WaveLimiterHint : 1
; COMPUTE_PGM_RSRC2:SCRATCH_EN: 0
; COMPUTE_PGM_RSRC2:USER_SGPR: 2
; COMPUTE_PGM_RSRC2:TRAP_HANDLER: 0
; COMPUTE_PGM_RSRC2:TGID_X_EN: 1
; COMPUTE_PGM_RSRC2:TGID_Y_EN: 0
; COMPUTE_PGM_RSRC2:TGID_Z_EN: 0
; COMPUTE_PGM_RSRC2:TIDIG_COMP_CNT: 0
	.text
	.p2alignl 7, 3214868480
	.fill 96, 4, 3214868480
	.type	__hip_cuid_d03d607c0654c552,@object ; @__hip_cuid_d03d607c0654c552
	.section	.bss,"aw",@nobits
	.globl	__hip_cuid_d03d607c0654c552
__hip_cuid_d03d607c0654c552:
	.byte	0                               ; 0x0
	.size	__hip_cuid_d03d607c0654c552, 1

	.ident	"AMD clang version 19.0.0git (https://github.com/RadeonOpenCompute/llvm-project roc-6.4.0 25133 c7fe45cf4b819c5991fe208aaa96edf142730f1d)"
	.section	".note.GNU-stack","",@progbits
	.addrsig
	.addrsig_sym __hip_cuid_d03d607c0654c552
	.amdgpu_metadata
---
amdhsa.kernels:
  - .args:
      - .actual_access:  read_only
        .address_space:  global
        .offset:         0
        .size:           8
        .value_kind:     global_buffer
      - .actual_access:  read_only
        .address_space:  global
        .offset:         8
        .size:           8
        .value_kind:     global_buffer
      - .actual_access:  read_only
        .address_space:  global
        .offset:         16
        .size:           8
        .value_kind:     global_buffer
      - .actual_access:  read_only
        .address_space:  global
        .offset:         24
        .size:           8
        .value_kind:     global_buffer
      - .actual_access:  read_only
        .address_space:  global
        .offset:         32
        .size:           8
        .value_kind:     global_buffer
      - .offset:         40
        .size:           8
        .value_kind:     by_value
      - .address_space:  global
        .offset:         48
        .size:           8
        .value_kind:     global_buffer
      - .address_space:  global
        .offset:         56
        .size:           8
        .value_kind:     global_buffer
      - .address_space:  global
        .offset:         64
        .size:           8
        .value_kind:     global_buffer
      - .address_space:  global
        .offset:         72
        .size:           8
        .value_kind:     global_buffer
      - .offset:         80
        .size:           4
        .value_kind:     by_value
      - .address_space:  global
        .offset:         88
        .size:           8
        .value_kind:     global_buffer
      - .address_space:  global
        .offset:         96
        .size:           8
        .value_kind:     global_buffer
    .group_segment_fixed_size: 6120
    .kernarg_segment_align: 8
    .kernarg_segment_size: 104
    .language:       OpenCL C
    .language_version:
      - 2
      - 0
    .max_flat_workgroup_size: 51
    .name:           bluestein_single_fwd_len255_dim1_sp_op_CI_CI
    .private_segment_fixed_size: 0
    .sgpr_count:     18
    .sgpr_spill_count: 0
    .symbol:         bluestein_single_fwd_len255_dim1_sp_op_CI_CI.kd
    .uniform_work_group_size: 1
    .uses_dynamic_stack: false
    .vgpr_count:     234
    .vgpr_spill_count: 0
    .wavefront_size: 32
    .workgroup_processor_mode: 1
amdhsa.target:   amdgcn-amd-amdhsa--gfx1201
amdhsa.version:
  - 1
  - 2
...

	.end_amdgpu_metadata
